;; amdgpu-corpus repo=ROCm/aiter kind=harvested arch=n/a opt=n/a

/root/src/amdgpu-assembly/repos/ROCm__aiter/hsa/gfx950/fmoe/silu/fmoe_bf16_blockscaleFp8_g1u1_vs_silu_1tg_pf2_16x256.co:	file format elf64-amdgpu

Disassembly of section .text:

0000000000002e00 <_ZN5aiter47fmoe_bf16_blockscaleFp8_g1u1_vs_pf2_silu_16x256E>:
	s_and_b32 s1, s1, 0xffff                                   // 000000002E00: 8601FF01 0000FFFF
	s_load_dwordx2 s[8:9], s[0:1], 0x0                         // 000000002E08: C0060200 00000000
	s_load_dwordx2 s[20:21], s[0:1], 0x10                      // 000000002E10: C0060500 00000010
	s_load_dwordx2 s[24:25], s[0:1], 0x20                      // 000000002E18: C0060600 00000020
	s_load_dwordx2 s[50:51], s[0:1], 0x30                      // 000000002E20: C0060C80 00000030
	s_load_dwordx2 s[12:13], s[0:1], 0x40                      // 000000002E28: C0060300 00000040
	s_load_dwordx2 s[28:29], s[0:1], 0x50                      // 000000002E30: C0060700 00000050
	s_load_dwordx2 s[32:33], s[0:1], 0x60                      // 000000002E38: C0060800 00000060
	s_load_dwordx2 s[16:17], s[0:1], 0x70                      // 000000002E40: C0060400 00000070
	s_load_dwordx2 s[36:37], s[0:1], 0x80                      // 000000002E48: C0060900 00000080
	s_load_dwordx2 s[44:45], s[0:1], 0x90                      // 000000002E50: C0060B00 00000090
	s_load_dwordx2 s[40:41], s[0:1], 0xa0                      // 000000002E58: C0060A00 000000A0
	s_load_dwordx2 s[46:47], s[0:1], 0xb0                      // 000000002E60: C0060B80 000000B0
	s_load_dword s64, s[0:1], 0xc0                             // 000000002E68: C0021000 000000C0
	s_load_dword s65, s[0:1], 0xd0                             // 000000002E70: C0021040 000000D0
	s_load_dword s66, s[0:1], 0xe0                             // 000000002E78: C0021080 000000E0
	s_load_dword s67, s[0:1], 0xf0                             // 000000002E80: C00210C0 000000F0
	s_load_dword s68, s[0:1], 0x100                            // 000000002E88: C0021100 00000100
	s_load_dword s69, s[0:1], 0x110                            // 000000002E90: C0021140 00000110
	s_load_dword s70, s[0:1], 0x120                            // 000000002E98: C0021180 00000120
	s_load_dword s71, s[0:1], 0x130                            // 000000002EA0: C00211C0 00000130
	s_load_dword s72, s[0:1], 0x140                            // 000000002EA8: C0021200 00000140
	s_load_dword s73, s[0:1], 0x150                            // 000000002EB0: C0021240 00000150
	s_load_dword s74, s[0:1], 0x160                            // 000000002EB8: C0021280 00000160
	s_load_dword s75, s[0:1], 0x170                            // 000000002EC0: C00212C0 00000170
	s_load_dword s76, s[0:1], 0x180                            // 000000002EC8: C0021300 00000180
	v_lshrrev_b32_e32 v1, 10, v0                               // 000000002ED0: 2002008A
	v_lshrrev_b32_e32 v2, 10, v1                               // 000000002ED4: 2004028A
	v_and_b32_e32 v2, 0x3ff, v2                                // 000000002ED8: 260404FF 000003FF
	v_and_b32_e32 v1, 0x3ff, v1                                // 000000002EE0: 260202FF 000003FF
	v_and_b32_e32 v0, 0x3ff, v0                                // 000000002EE8: 260000FF 000003FF
	v_lshrrev_b32_e32 v3, 6, v0                                // 000000002EF0: 20060086
	v_and_b32_e32 v0, 63, v0                                   // 000000002EF4: 260000BF
	s_mov_b32 s2, s2                                           // 000000002EF8: BE820002
	s_mov_b32 s3, s3                                           // 000000002EFC: BE830003
	s_mov_b32 s4, s4                                           // 000000002F00: BE840004
	v_readfirstlane_b32 s7, v3                                 // 000000002F04: 7E0E0503
	s_waitcnt lgkmcnt(0)                                       // 000000002F08: BF8CC07F
	s_and_b32 s51, s51, 0xffff                                 // 000000002F0C: 8633FF33 0000FFFF
	s_load_dword s50, s[50:51], 0x0                            // 000000002F14: C0020C99 00000000
	s_and_b32 s45, s45, 0xffff                                 // 000000002F1C: 862DFF2D 0000FFFF
	s_and_b32 s47, s47, 0xffff                                 // 000000002F24: 862FFF2F 0000FFFF
	s_and_b32 s9, s9, 0xffff                                   // 000000002F2C: 8609FF09 0000FFFF
	s_mul_i32 s60, s66, s68                                    // 000000002F34: 923C4442
	s_mul_i32 s61, s66, 4                                      // 000000002F38: 923D8442
	s_mov_b32 s22, s60                                         // 000000002F3C: BE96003C
	s_mov_b32 s26, -16                                         // 000000002F40: BE9A00D0
	s_mov_b32 s14, -16                                         // 000000002F44: BE8E00D0
	s_mov_b32 s42, -16                                         // 000000002F48: BEAA00D0
	s_mov_b32 s30, -16                                         // 000000002F4C: BE9E00D0
	s_mov_b32 s34, -16                                         // 000000002F50: BEA200D0
	s_mov_b32 s38, -16                                         // 000000002F54: BEA600D0
	s_mov_b32 s18, -16                                         // 000000002F58: BE9200D0
	s_mul_i32 s60, s66, s71                                    // 000000002F5C: 923C4742
	s_mov_b32 s10, s60                                         // 000000002F60: BE8A003C
	s_mov_b32 s23, 0x20000                                     // 000000002F64: BE9700FF 00020000
	s_mov_b32 s27, 0x20000                                     // 000000002F6C: BE9B00FF 00020000
	s_mov_b32 s15, 0x20000                                     // 000000002F74: BE8F00FF 00020000
	s_mov_b32 s43, 0x20000                                     // 000000002F7C: BEAB00FF 00020000
	s_mov_b32 s31, 0x20000                                     // 000000002F84: BE9F00FF 00020000
	s_mov_b32 s35, 0x20000                                     // 000000002F8C: BEA300FF 00020000
	s_mov_b32 s39, 0x20000                                     // 000000002F94: BEA700FF 00020000
	s_mov_b32 s19, 0x20000                                     // 000000002F9C: BE9300FF 00020000
	s_mov_b32 s11, 0x20000                                     // 000000002FA4: BE8B00FF 00020000
	s_and_b32 s21, s21, 0xffff                                 // 000000002FAC: 8615FF15 0000FFFF
	s_and_b32 s25, s25, 0xffff                                 // 000000002FB4: 8619FF19 0000FFFF
	s_and_b32 s13, s13, 0xffff                                 // 000000002FBC: 860DFF0D 0000FFFF
	s_and_b32 s41, s41, 0xffff                                 // 000000002FC4: 8629FF29 0000FFFF
	s_and_b32 s29, s29, 0xffff                                 // 000000002FCC: 861DFF1D 0000FFFF
	s_and_b32 s33, s33, 0xffff                                 // 000000002FD4: 8621FF21 0000FFFF
	s_and_b32 s37, s37, 0xffff                                 // 000000002FDC: 8625FF25 0000FFFF
	s_and_b32 s17, s17, 0xffff                                 // 000000002FE4: 8611FF11 0000FFFF
	s_or_b32 s21, s21, 0x40000                                 // 000000002FEC: 8715FF15 00040000
	s_or_b32 s25, s25, 0x40000                                 // 000000002FF4: 8719FF19 00040000
	s_or_b32 s13, s13, 0x40000                                 // 000000002FFC: 870DFF0D 00040000
	s_or_b32 s41, s41, 0x40000                                 // 000000003004: 8729FF29 00040000
	s_or_b32 s29, s29, 0x40000                                 // 00000000300C: 871DFF1D 00040000
	s_or_b32 s33, s33, 0x40000                                 // 000000003014: 8721FF21 00040000
	s_or_b32 s37, s37, 0x40000                                 // 00000000301C: 8725FF25 00040000
	s_or_b32 s17, s17, 0x40000                                 // 000000003024: 8711FF11 00040000
	v_accvgpr_write_b32 a255, 0                                // 00000000302C: D3D940FF 18000080
	v_mov_b32_e32 v191, 0                                      // 000000003034: 7F7E0280
	s_waitcnt lgkmcnt(0)                                       // 000000003038: BF8CC07F
	s_mul_i32 s60, s3, 16                                      // 00000000303C: 923C9003
	s_cmp_lt_i32 s60, s50                                      // 000000003040: BF04323C
	s_cbranch_scc0 label_14B9                                  // 000000003044: BF841427
	s_mov_b32 s80, 0                                           // 000000003048: BED00080
	s_mov_b32 s81, s64                                         // 00000000304C: BED10040
	s_mul_i32 s60, s3, 4                                       // 000000003050: 923C8403
	s_add_u32 s46, s60, s46                                    // 000000003054: 802E2E3C
	s_addc_u32 s47, 0, s47                                     // 000000003058: 822F2F80
	s_load_dword s5, s[46:47], 0x0                             // 00000000305C: C0020157 00000000
	s_mul_i32 s60, s3, 16                                      // 000000003064: 923C9003
	s_mul_i32 s60, 4, s60                                      // 000000003068: 923C3C84
	v_and_b32_e32 v46, 15, v0                                  // 00000000306C: 265C008F
	v_lshlrev_b32_e32 v46, 2, v46                              // 000000003070: 245C5C82
	v_add_u32_e32 v46, s60, v46                                // 000000003074: 685C5C3C
	v_mov_b32_e32 v47, 0                                       // 000000003078: 7E5E0280
	global_load_dword v7, v46, s[44:45]                        // 00000000307C: DC508000 072C002E
	s_mul_i32 s60, s3, 16                                      // 000000003084: 923C9003
	s_lshr_b32 s61, s7, 1                                      // 000000003088: 8F3D8107
	s_mul_i32 s61, s61, 8                                      // 00000000308C: 923D883D
	s_add_u32 s60, s61, s60                                    // 000000003090: 803C3C3D
	s_and_b32 s61, s7, 1                                       // 000000003094: 863D8107
	s_mul_i32 s61, s61, 2                                      // 000000003098: 923D823D
	s_add_u32 s60, s61, s60                                    // 00000000309C: 803C3C3D
	s_mul_i32 s60, 4, s60                                      // 0000000030A0: 923C3C84
	s_add_u32 s44, s60, s44                                    // 0000000030A4: 802C2C3C
	s_addc_u32 s45, 0, s45                                     // 0000000030A8: 822D2D80
	s_load_dword s82, s[44:45], 0x0                            // 0000000030AC: C0021496 00000000
	s_load_dword s83, s[44:45], 0x4                            // 0000000030B4: C00214D6 00000004
	s_load_dword s84, s[44:45], 0x10                           // 0000000030BC: C0021516 00000010
	s_load_dword s85, s[44:45], 0x14                           // 0000000030C4: C0021556 00000014
	s_waitcnt lgkmcnt(0)                                       // 0000000030CC: BF8CC07F
	s_and_b32 s82, s82, 0xffffff                               // 0000000030D0: 8652FF52 00FFFFFF
	s_mul_i32 s62, s82, s68                                    // 0000000030D8: 923E4452
	s_lshl_b32 s60, 0xff, 0                                    // 0000000030DC: 8E3C80FF 000000FF
	s_mov_b32 s61, 0                                           // 0000000030E4: BEBD0080
	s_lshl_b32 s61, 0xff, 0                                    // 0000000030E8: 8E3D80FF 000000FF
	s_mov_b64 exec, s[60:61]                                   // 0000000030F0: BEFE013C
	v_mov_b32_e32 v31, s62                                     // 0000000030F4: 7E3E023E
	s_and_b32 s83, s83, 0xffffff                               // 0000000030F8: 8653FF53 00FFFFFF
	s_mul_i32 s62, s83, s68                                    // 000000003100: 923E4453
	s_lshl_b32 s60, 0xff, 8                                    // 000000003104: 8E3C88FF 000000FF
	s_lshl_b32 s61, 0xff, 8                                    // 00000000310C: 8E3D88FF 000000FF
	s_mov_b64 exec, s[60:61]                                   // 000000003114: BEFE013C
	v_mov_b32_e32 v31, s62                                     // 000000003118: 7E3E023E
	s_and_b32 s84, s84, 0xffffff                               // 00000000311C: 8654FF54 00FFFFFF
	s_mul_i32 s62, s84, s68                                    // 000000003124: 923E4454
	s_lshl_b32 s60, 0xff, 16                                   // 000000003128: 8E3C90FF 000000FF
	s_lshl_b32 s61, 0xff, 16                                   // 000000003130: 8E3D90FF 000000FF
	s_mov_b64 exec, s[60:61]                                   // 000000003138: BEFE013C
	v_mov_b32_e32 v31, s62                                     // 00000000313C: 7E3E023E
	s_and_b32 s85, s85, 0xffffff                               // 000000003140: 8655FF55 00FFFFFF
	s_mul_i32 s62, s85, s68                                    // 000000003148: 923E4455
	s_lshl_b32 s60, 0xff, 24                                   // 00000000314C: 8E3C98FF 000000FF
	s_lshl_b32 s61, 0xff, 24                                   // 000000003154: 8E3D98FF 000000FF
	s_mov_b64 exec, s[60:61]                                   // 00000000315C: BEFE013C
	v_mov_b32_e32 v31, s62                                     // 000000003160: 7E3E023E
	s_mov_b32 s60, -1                                          // 000000003164: BEBC00C1
	s_mov_b32 s61, -1                                          // 000000003168: BEBD00C1
	s_mov_b64 exec, s[60:61]                                   // 00000000316C: BEFE013C
	v_and_b32_e64 v46, v0, 7                                   // 000000003170: D113002E 00010F00
	v_lshlrev_b32_e32 v46, 4, v46                              // 000000003178: 245C5C84
	v_add_u32_e32 v31, v31, v46                                // 00000000317C: 683E5D1F
	s_mov_b32 s62, 0x80                                        // 000000003180: BEBE00FF 00000080
	s_mov_b32 s60, 0                                           // 000000003188: BEBC0080
	s_mov_b32 s61, -1                                          // 00000000318C: BEBD00C1
	s_mov_b64 exec, s[60:61]                                   // 000000003190: BEFE013C
	v_add_u32_e64 v31, v31, s62                                // 000000003194: D134001F 00007D1F
	s_mov_b64 exec, -1                                         // 00000000319C: BEFE01C1
	v_lshlrev_b32_e32 v46, 2, v0                               // 0000000031A0: 245C0082
	s_mul_i32 s60, s82, s71                                    // 0000000031A4: 923C4752
	v_add_u32_e64 v80, v46, s60                                // 0000000031A8: D1340050 0000792E
	v_mov_b32_e32 v81, 0                                       // 0000000031B0: 7EA20280
	s_mul_i32 s60, s83, s71                                    // 0000000031B4: 923C4753
	v_add_u32_e64 v82, v46, s60                                // 0000000031B8: D1340052 0000792E
	v_mov_b32_e32 v83, 0                                       // 0000000031C0: 7EA60280
	s_mul_i32 s60, s84, s71                                    // 0000000031C4: 923C4754
	v_add_u32_e64 v84, v46, s60                                // 0000000031C8: D1340054 0000792E
	v_mov_b32_e32 v85, 0                                       // 0000000031D0: 7EAA0280
	s_mul_i32 s60, s85, s71                                    // 0000000031D4: 923C4755
	v_add_u32_e64 v86, v46, s60                                // 0000000031D8: D1340056 0000792E
	v_mov_b32_e32 v87, 0                                       // 0000000031E0: 7EAE0280
	s_mul_i32 s60, s7, 0x420                                   // 0000000031E4: 923CFF07 00000420
	s_add_u32 s50, 0, s60                                      // 0000000031EC: 80323C80
	s_add_u32 s51, 0x1500, s50                                 // 0000000031F0: 803332FF 00001500
	v_and_b32_e32 v46, 15, v0                                  // 0000000031F8: 265C008F
	v_lshrrev_b32_e32 v47, 3, v46                              // 0000000031FC: 205E5C83
	v_mul_lo_u32 v47, 2, v47                                   // 000000003200: D285002F 00025E82
	v_and_b32_e32 v46, 3, v0                                   // 000000003208: 265C0083
	v_lshrrev_b32_e32 v48, 1, v46                              // 00000000320C: 20605C81
	v_add_u32_e32 v46, v47, v48                                // 000000003210: 685C612F
	v_mul_i32_i24_e32 v2, 0x420, v46                           // 000000003214: 0C045CFF 00000420
	v_and_b32_e32 v46, 7, v0                                   // 00000000321C: 265C0087
	v_lshrrev_b32_e32 v47, 2, v46                              // 000000003220: 205E5C82
	v_mul_i32_i24_e32 v47, 0x100, v47                          // 000000003224: 0C5E5EFF 00000100
	v_and_b32_e32 v46, 1, v0                                   // 00000000322C: 265C0081
	v_mul_i32_i24_e32 v48, 0x80, v46                           // 000000003230: 0C605CFF 00000080
	v_add_u32_e32 v2, v47, v2                                  // 000000003238: 6804052F
	v_add_u32_e32 v2, v48, v2                                  // 00000000323C: 68040530
	v_lshrrev_b32_e32 v46, 4, v0                               // 000000003240: 205C0084
	v_mul_lo_u32 v46, 16, v46                                  // 000000003244: D285002E 00025C90
	v_add_u32_e32 v2, v46, v2                                  // 00000000324C: 6804052E
	s_mul_i32 s60, s2, 0x100                                   // 000000003250: 923CFF02 00000100
	s_mul_i32 s60, s60, s69                                    // 000000003258: 923C453C
	s_mul_i32 s61, s5, s72                                     // 00000000325C: 923D4805
	s_add_u32 s60, s61, s60                                    // 000000003260: 803C3C3D
	s_add_u32 s24, s60, s24                                    // 000000003264: 8018183C
	s_addc_u32 s25, 0, s25                                     // 000000003268: 82191980
	s_mul_i32 s60, s7, 16                                      // 00000000326C: 923C9007
	s_mul_i32 s60, s60, s69                                    // 000000003270: 923C453C
	v_lshlrev_b32_e32 v33, 4, v0                               // 000000003274: 24420084
	v_add_u32_e32 v33, s60, v33                                // 000000003278: 6842423C
	s_mul_i32 s60, 64, s69                                     // 00000000327C: 923C45C0
	v_add_u32_e32 v34, s60, v33                                // 000000003280: 6844423C
	v_add_u32_e32 v35, s60, v34                                // 000000003284: 6846443C
	v_add_u32_e32 v36, s60, v35                                // 000000003288: 6848463C
	s_mov_b32 s92, s24                                         // 00000000328C: BEDC0018
	s_mov_b32 s93, s25                                         // 000000003290: BEDD0019
	s_mov_b32 s94, s26                                         // 000000003294: BEDE001A
	s_mov_b32 s95, s27                                         // 000000003298: BEDF001B
	s_mul_i32 s60, s69, s65                                    // 00000000329C: 923C4145
	s_add_u32 s92, s60, s92                                    // 0000000032A0: 805C5C3C
	s_addc_u32 s93, 0, s93                                     // 0000000032A4: 825D5D80
	s_mul_i32 s60, s2, 0x1000                                  // 0000000032A8: 923CFF02 00001000
	s_mul_i32 s61, s5, s73                                     // 0000000032B0: 923D4905
	s_add_u32 s60, s61, s60                                    // 0000000032B4: 803C3C3D
	s_add_u32 s12, s60, s12                                    // 0000000032B8: 800C0C3C
	s_addc_u32 s13, 0, s13                                     // 0000000032BC: 820D0D80
	s_mul_i32 s60, s7, 16                                      // 0000000032C0: 923C9007
	s_mul_i32 s60, s60, s70                                    // 0000000032C4: 923C463C
	v_lshlrev_b32_e32 v37, 4, v0                               // 0000000032C8: 244A0084
	v_add_u32_e32 v37, s60, v37                                // 0000000032CC: 684A4A3C
	s_mul_i32 s60, 64, s70                                     // 0000000032D0: 923C46C0
	v_add_u32_e32 v38, s60, v37                                // 0000000032D4: 684C4A3C
	v_add_u32_e32 v39, s60, v38                                // 0000000032D8: 684E4C3C
	v_add_u32_e32 v40, s60, v39                                // 0000000032DC: 68504E3C
	s_mul_i32 s60, s70, 0x100                                  // 0000000032E0: 923CFF46 00000100
	s_mov_b32 s78, 0x800                                       // 0000000032E8: BECE00FF 00000800
	s_mul_i32 s61, s78, 1                                      // 0000000032F0: 923D814E
	s_sub_u32 s56, s60, s61                                    // 0000000032F4: 80B83D3C
	s_mul_i32 s60, s3, 16                                      // 0000000032F8: 923C9003
	s_mul_i32 s60, 4, s60                                      // 0000000032FC: 923C3C84
	s_add_u32 s40, s60, s40                                    // 000000003300: 8028283C
	s_addc_u32 s41, 0, s41                                     // 000000003304: 82292980
	v_and_b32_e32 v46, 15, v0                                  // 000000003308: 265C008F
	v_lshlrev_b32_e32 v9, 2, v46                               // 00000000330C: 24125C82
	v_add_u32_e32 v10, 64, v9                                  // 000000003310: 681412C0
	s_lshr_b32 s60, s64, 7                                     // 000000003314: 8F3C8740
	s_mul_i32 s61, s60, 4                                      // 000000003318: 923D843C
	v_and_b32_e64 v11, v0, 1                                   // 00000000331C: D113000B 00010300
	v_mul_lo_u32 v11, v11, s61                                 // 000000003324: D285000B 00007B0B
	v_and_b32_e64 v46, v0, 3                                   // 00000000332C: D113002E 00010700
	v_lshrrev_b32_e32 v46, 1, v46                              // 000000003334: 205C5C81
	v_mul_lo_u32 v46, 4, v46                                   // 000000003338: D285002E 00025C84
	v_add_u32_e32 v11, v11, v46                                // 000000003340: 68165D0B
	s_lshr_b32 s60, s65, 7                                     // 000000003344: 8F3C8741
	s_mul_i32 s60, s60, s61                                    // 000000003348: 923C3D3C
	v_add_u32_e64 v13, v11, s60                                // 00000000334C: D134000D 0000790B
	s_mov_b32 s4, 8                                            // 000000003354: BE840088
	s_mul_i32 s60, s2, 2                                       // 000000003358: 923C8202
	s_mul_i32 s60, s60, s61                                    // 00000000335C: 923C3D3C
	s_mul_i32 s61, s5, s74                                     // 000000003360: 923D4A05
	s_add_u32 s61, s61, s60                                    // 000000003364: 803D3C3D
	s_add_u32 s32, s61, s32                                    // 000000003368: 8020203D
	s_addc_u32 s33, 0, s33                                     // 00000000336C: 82212180
	s_lshr_b32 s60, s65, 7                                     // 000000003370: 8F3C8741
	s_mul_i32 s61, s60, 4                                      // 000000003374: 923D843C
	s_mul_i32 s60, s2, 2                                       // 000000003378: 923C8202
	s_mul_i32 s60, s60, 4                                      // 00000000337C: 923C843C
	v_and_b32_e64 v6, v0, 1                                    // 000000003380: D1130006 00010300
	v_mul_lo_u32 v6, v6, s61                                   // 000000003388: D2850006 00007B06
	v_and_b32_e64 v46, v0, 3                                   // 000000003390: D113002E 00010700
	v_lshrrev_b32_e32 v46, 1, v46                              // 000000003398: 205C5C81
	v_mul_lo_u32 v46, 4, v46                                   // 00000000339C: D285002E 00025C84
	v_add_i32 v6, v6, v46                                      // 0000000033A4: D29C0006 00025D06
	v_add_i32 v6, v6, s60                                      // 0000000033AC: D29C0006 00007906
	s_mul_i32 s60, s5, s75                                     // 0000000033B4: 923C4B05
	s_add_u32 s16, s60, s16                                    // 0000000033B8: 8010103C
	s_addc_u32 s17, 0, s17                                     // 0000000033BC: 82111180
	s_mov_b32 s57, 0x100                                       // 0000000033C0: BEB900FF 00000100
	s_mov_b32 s58, 0x1000                                      // 0000000033C8: BEBA00FF 00001000
	s_mul_i32 s79, 2, s61                                      // 0000000033D0: 924F3D82
	s_mov_b32 s59, 0                                           // 0000000033D4: BEBB0080
	s_mov_b32 s90, s58                                         // 0000000033D8: BEDA003A
	s_mov_b32 s53, 0x7060302                                   // 0000000033DC: BEB500FF 07060302
	s_mov_b32 s54, 0x400                                       // 0000000033E4: BEB600FF 00000400
	s_mov_b32 s55, 0x40100                                     // 0000000033EC: BEB700FF 00040100
	s_mov_b32 s63, 0x4020100                                   // 0000000033F4: BEBF00FF 04020100
	s_mov_b32 s6, 0x3fb8aa3b                                   // 0000000033FC: BE8600FF 3FB8AA3B
	s_mov_b32 s77, 0xbd92220c                                  // 000000003404: BECD00FF BD92220C
	s_mov_b32 m0, s50                                          // 00000000340C: BEFC0032
	v_mov_b32_e32 v1, 0xbfcc4231                               // 000000003410: 7E0202FF BFCC4231
	v_mov_b32_e32 v42, 0xffff0000                              // 000000003418: 7E5402FF FFFF0000
	v_mov_b32_e32 v43, 0x7fff0000                              // 000000003420: 7E5602FF 7FFF0000
	v_mov_b32_e32 v44, 0x7fff                                  // 000000003428: 7E5802FF 00007FFF
	s_waitcnt vmcnt(0) expcnt(0) lgkmcnt(0)                    // 000000003430: BF8C0000
	v_and_b32_e32 v7, 0xffffff, v7                             // 000000003434: 260E0EFF 00FFFFFF
	v_and_b32_e32 v8, 0xffffff, v8                             // 00000000343C: 261010FF 00FFFFFF
	v_lshlrev_b32_e32 v7, 2, v7                                // 000000003444: 240E0E82
	v_lshlrev_b32_e32 v8, 2, v8                                // 000000003448: 24101082
	s_and_b32 s60, s7, 1                                       // 00000000344C: 863C8107
	s_lshl_b32 s3, s66, 2                                      // 000000003450: 8E038242
	s_mul_i32 s60, s60, s3                                     // 000000003454: 923C033C
	s_add_u32 s28, s28, s60                                    // 000000003458: 801C3C1C
	s_addc_u32 s29, 0, s29                                     // 00000000345C: 821D1D80
	s_mov_b32 s30, s3                                          // 000000003460: BE9E0003
	s_lshl_b32 s3, s3, 1                                       // 000000003464: 8E038103
	s_lshr_b32 s61, s7, 1                                      // 000000003468: 8F3D8107
	s_cmp_eq_u32 s61, 1                                        // 00000000346C: BF06813D
	s_cselect_b32 s60, 0, 1                                    // 000000003470: 853C8180
	v_mul_lo_u32 v46, v7, s60                                  // 000000003474: D285002E 00007907
	v_mul_lo_u32 v47, v8, s61                                  // 00000000347C: D285002F 00007B08
	v_add_u32_e32 v46, v46, v47                                // 000000003484: 685C5F2E
	v_mov_b32_e32 v7, v46                                      // 000000003488: 7E0E032E
	s_mul_i32 s60, s7, 0x100                                   // 00000000348C: 923CFF07 00000100
	s_sub_u32 s61, 4, s7                                       // 000000003494: 80BD0784
	s_mul_i32 s61, s61, 0x420                                  // 000000003498: 923DFF3D 00000420
	s_add_u32 s76, s60, s61                                    // 0000000034A0: 804C3D3C
	s_add_u32 s76, 0x80, s76                                   // 0000000034A4: 804C4CFF 00000080
	v_lshlrev_b32_e32 v3, 2, v0                                // 0000000034AC: 24060082
	buffer_load_dword v23, v9, s[40:43], 0 offen               // 0000000034B0: E0501000 800A1709
	buffer_load_dword v24, v10, s[40:43], 0 offen              // 0000000034B8: E0501000 800A180A
	buffer_load_dwordx4 v31, s[20:23], 0 offen lds             // 0000000034C0: E05D1000 8005001F
	s_add_u32 m0, m0, s76                                      // 0000000034C8: 807C4C7C
	buffer_load_dword v7, s[28:31], 0 offen lds                // 0000000034CC: E0511000 80070007
	s_add_u32 m0, 0, s51                                       // 0000000034D4: 807C3380
	s_add_u32 s20, s57, s20                                    // 0000000034D8: 80141439
	s_addc_u32 s21, 0, s21                                     // 0000000034DC: 82151580
	s_add_u32 s28, s3, s28                                     // 0000000034E0: 801C1C03
	s_addc_u32 s29, 0, s29                                     // 0000000034E4: 821D1D80
	buffer_load_dword v19, v11, s[32:35], 0 offen              // 0000000034E8: E0501000 8008130B
	buffer_load_dword v21, v13, s[32:35], 0 offen              // 0000000034F0: E0501000 8008150D
	s_add_u32 s60, 0x100, s80                                  // 0000000034F8: 803C50FF 00000100
	s_cmp_lt_u32 s60, s81                                      // 000000003500: BF0A513C
	s_cselect_b32 s4, s4, 0                                    // 000000003504: 85048004
	s_add_u32 s32, s4, s32                                     // 000000003508: 80202004
	s_addc_u32 s33, 0, s33                                     // 00000000350C: 82212180
	buffer_load_dwordx4 a[0:3], v33, s[24:27], 0 offen         // 000000003510: E05C1000 80860021
	buffer_load_dwordx4 a[4:7], v33, s[24:27], 0 offen offset:1024// 000000003518: E05C1400 80860421
	buffer_load_dwordx4 a[8:11], v34, s[24:27], 0 offen        // 000000003520: E05C1000 80860822
	buffer_load_dwordx4 a[12:15], v34, s[24:27], 0 offen offset:1024// 000000003528: E05C1400 80860C22
	buffer_load_dwordx4 a[16:19], v35, s[24:27], 0 offen       // 000000003530: E05C1000 80861023
	buffer_load_dwordx4 a[20:23], v35, s[24:27], 0 offen offset:1024// 000000003538: E05C1400 80861423
	buffer_load_dwordx4 a[24:27], v36, s[24:27], 0 offen       // 000000003540: E05C1000 80861824
	buffer_load_dwordx4 a[28:31], v36, s[24:27], 0 offen offset:1024// 000000003548: E05C1400 80861C24
	buffer_load_dwordx4 a[32:35], v33, s[24:27], 0 offen offset:2048// 000000003550: E05C1800 80862021
	buffer_load_dwordx4 a[36:39], v33, s[24:27], 0 offen offset:3072// 000000003558: E05C1C00 80862421
	buffer_load_dwordx4 a[40:43], v34, s[24:27], 0 offen offset:2048// 000000003560: E05C1800 80862822
	buffer_load_dwordx4 a[44:47], v34, s[24:27], 0 offen offset:3072// 000000003568: E05C1C00 80862C22
	buffer_load_dwordx4 a[48:51], v35, s[24:27], 0 offen offset:2048// 000000003570: E05C1800 80863023
	buffer_load_dwordx4 a[52:55], v35, s[24:27], 0 offen offset:3072// 000000003578: E05C1C00 80863423
	buffer_load_dwordx4 a[56:59], v36, s[24:27], 0 offen offset:2048// 000000003580: E05C1800 80863824
	buffer_load_dwordx4 a[60:63], v36, s[24:27], 0 offen offset:3072// 000000003588: E05C1C00 80863C24
	buffer_load_dwordx4 a[64:67], v33, s[92:95], 0 offen       // 000000003590: E05C1000 80974021
	buffer_load_dwordx4 a[68:71], v33, s[92:95], 0 offen offset:1024// 000000003598: E05C1400 80974421
	buffer_load_dwordx4 a[72:75], v34, s[92:95], 0 offen       // 0000000035A0: E05C1000 80974822
	buffer_load_dwordx4 a[76:79], v34, s[92:95], 0 offen offset:1024// 0000000035A8: E05C1400 80974C22
	buffer_load_dwordx4 a[80:83], v35, s[92:95], 0 offen       // 0000000035B0: E05C1000 80975023
	buffer_load_dwordx4 a[84:87], v35, s[92:95], 0 offen offset:1024// 0000000035B8: E05C1400 80975423
	buffer_load_dwordx4 a[88:91], v36, s[92:95], 0 offen       // 0000000035C0: E05C1000 80975824
	buffer_load_dwordx4 a[92:95], v36, s[92:95], 0 offen offset:1024// 0000000035C8: E05C1400 80975C24
	buffer_load_dwordx4 a[96:99], v33, s[92:95], 0 offen offset:2048// 0000000035D0: E05C1800 80976021
	buffer_load_dwordx4 a[100:103], v33, s[92:95], 0 offen offset:3072// 0000000035D8: E05C1C00 80976421
	buffer_load_dwordx4 a[104:107], v34, s[92:95], 0 offen offset:2048// 0000000035E0: E05C1800 80976822
	buffer_load_dwordx4 a[108:111], v34, s[92:95], 0 offen offset:3072// 0000000035E8: E05C1C00 80976C22
	buffer_load_dwordx4 a[112:115], v35, s[92:95], 0 offen offset:2048// 0000000035F0: E05C1800 80977023
	buffer_load_dwordx4 a[116:119], v35, s[92:95], 0 offen offset:3072// 0000000035F8: E05C1C00 80977423
	buffer_load_dwordx4 a[120:123], v36, s[92:95], 0 offen offset:2048// 000000003600: E05C1800 80977824
	buffer_load_dwordx4 a[124:127], v36, s[92:95], 0 offen offset:3072// 000000003608: E05C1C00 80977C24
	s_add_u32 s24, s58, s24                                    // 000000003610: 8018183A
	s_addc_u32 s25, 0, s25                                     // 000000003614: 82191980
	s_add_u32 s92, s90, s92                                    // 000000003618: 805C5C5A
	s_addc_u32 s93, 0, s93                                     // 00000000361C: 825D5D80
	v_mov_b32_e32 v128, 0                                      // 000000003620: 7F000280
	v_mov_b32_e32 v64, 0                                       // 000000003624: 7E800280
	v_mov_b32_e32 v129, 0                                      // 000000003628: 7F020280
	v_mov_b32_e32 v65, 0                                       // 00000000362C: 7E820280
	v_mov_b32_e32 v130, 0                                      // 000000003630: 7F040280
	v_mov_b32_e32 v66, 0                                       // 000000003634: 7E840280
	v_mov_b32_e32 v131, 0                                      // 000000003638: 7F060280
	v_mov_b32_e32 v67, 0                                       // 00000000363C: 7E860280
	v_mov_b32_e32 v132, 0                                      // 000000003640: 7F080280
	v_mov_b32_e32 v68, 0                                       // 000000003644: 7E880280
	v_mov_b32_e32 v133, 0                                      // 000000003648: 7F0A0280
	v_mov_b32_e32 v69, 0                                       // 00000000364C: 7E8A0280
	v_mov_b32_e32 v134, 0                                      // 000000003650: 7F0C0280
	v_mov_b32_e32 v70, 0                                       // 000000003654: 7E8C0280
	v_mov_b32_e32 v135, 0                                      // 000000003658: 7F0E0280
	v_mov_b32_e32 v71, 0                                       // 00000000365C: 7E8E0280
	v_mov_b32_e32 v136, 0                                      // 000000003660: 7F100280
	v_mov_b32_e32 v72, 0                                       // 000000003664: 7E900280
	v_mov_b32_e32 v137, 0                                      // 000000003668: 7F120280
	v_mov_b32_e32 v73, 0                                       // 00000000366C: 7E920280
	v_mov_b32_e32 v138, 0                                      // 000000003670: 7F140280
	v_mov_b32_e32 v74, 0                                       // 000000003674: 7E940280
	v_mov_b32_e32 v139, 0                                      // 000000003678: 7F160280
	v_mov_b32_e32 v75, 0                                       // 00000000367C: 7E960280
	v_mov_b32_e32 v140, 0                                      // 000000003680: 7F180280
	v_mov_b32_e32 v76, 0                                       // 000000003684: 7E980280
	v_mov_b32_e32 v141, 0                                      // 000000003688: 7F1A0280
	v_mov_b32_e32 v77, 0                                       // 00000000368C: 7E9A0280
	v_mov_b32_e32 v142, 0                                      // 000000003690: 7F1C0280
	v_mov_b32_e32 v78, 0                                       // 000000003694: 7E9C0280
	v_mov_b32_e32 v143, 0                                      // 000000003698: 7F1E0280
	v_mov_b32_e32 v79, 0                                       // 00000000369C: 7E9E0280
	v_mov_b32_e32 v144, 0                                      // 0000000036A0: 7F200280
	v_mov_b32_e32 v80, 0                                       // 0000000036A4: 7EA00280
	v_mov_b32_e32 v145, 0                                      // 0000000036A8: 7F220280
	v_mov_b32_e32 v81, 0                                       // 0000000036AC: 7EA20280
	v_mov_b32_e32 v146, 0                                      // 0000000036B0: 7F240280
	v_mov_b32_e32 v82, 0                                       // 0000000036B4: 7EA40280
	v_mov_b32_e32 v147, 0                                      // 0000000036B8: 7F260280
	v_mov_b32_e32 v83, 0                                       // 0000000036BC: 7EA60280
	v_mov_b32_e32 v148, 0                                      // 0000000036C0: 7F280280
	v_mov_b32_e32 v84, 0                                       // 0000000036C4: 7EA80280
	v_mov_b32_e32 v149, 0                                      // 0000000036C8: 7F2A0280
	v_mov_b32_e32 v85, 0                                       // 0000000036CC: 7EAA0280
	v_mov_b32_e32 v150, 0                                      // 0000000036D0: 7F2C0280
	v_mov_b32_e32 v86, 0                                       // 0000000036D4: 7EAC0280
	v_mov_b32_e32 v151, 0                                      // 0000000036D8: 7F2E0280
	v_mov_b32_e32 v87, 0                                       // 0000000036DC: 7EAE0280
	v_mov_b32_e32 v152, 0                                      // 0000000036E0: 7F300280
	v_mov_b32_e32 v88, 0                                       // 0000000036E4: 7EB00280
	v_mov_b32_e32 v153, 0                                      // 0000000036E8: 7F320280
	v_mov_b32_e32 v89, 0                                       // 0000000036EC: 7EB20280
	v_mov_b32_e32 v154, 0                                      // 0000000036F0: 7F340280
	v_mov_b32_e32 v90, 0                                       // 0000000036F4: 7EB40280
	v_mov_b32_e32 v155, 0                                      // 0000000036F8: 7F360280
	v_mov_b32_e32 v91, 0                                       // 0000000036FC: 7EB60280
	v_mov_b32_e32 v156, 0                                      // 000000003700: 7F380280
	v_mov_b32_e32 v92, 0                                       // 000000003704: 7EB80280
	v_mov_b32_e32 v157, 0                                      // 000000003708: 7F3A0280
	v_mov_b32_e32 v93, 0                                       // 00000000370C: 7EBA0280
	v_mov_b32_e32 v158, 0                                      // 000000003710: 7F3C0280
	v_mov_b32_e32 v94, 0                                       // 000000003714: 7EBC0280
	v_mov_b32_e32 v159, 0                                      // 000000003718: 7F3E0280
	v_mov_b32_e32 v95, 0                                       // 00000000371C: 7EBE0280
	v_lshrrev_b32_e32 v46, 4, v0                               // 000000003720: 205C0084
	v_mul_lo_u32 v4, 34, v46                                   // 000000003724: D2850004 00025CA2
	v_and_b32_e32 v46, 15, v0                                  // 00000000372C: 265C008F
	v_mul_lo_u32 v47, 2, v46                                   // 000000003730: D285002F 00025C82
	v_add_u32_e32 v4, v47, v4                                  // 000000003738: 6808092F
	s_mul_i32 s60, s7, 0x88                                    // 00000000373C: 923CFF07 00000088
	v_add_u32_e32 v4, s60, v4                                  // 000000003744: 6808083C
	v_lshlrev_b32_e32 v4, 2, v4                                // 000000003748: 24080882
	v_lshrrev_b32_e32 v46, 1, v0                               // 00000000374C: 205C0081
	v_mul_lo_u32 v5, 34, v46                                   // 000000003750: D2850005 00025CA2
	v_and_b32_e32 v47, 1, v0                                   // 000000003758: 265E0081
	v_add_u32_e32 v5, v47, v5                                  // 00000000375C: 680A0B2F
	s_mov_b32 s60, 0                                           // 000000003760: BEBC0080
	s_lshr_b32 s61, s7, 1                                      // 000000003764: 8F3D8107
	s_mul_i32 s61, s61, 8                                      // 000000003768: 923D883D
	s_add_u32 s60, s61, s60                                    // 00000000376C: 803C3C3D
	s_and_b32 s61, s7, 1                                       // 000000003770: 863D8107
	s_mul_i32 s61, s61, 2                                      // 000000003774: 923D823D
	s_add_u32 s60, s61, s60                                    // 000000003778: 803C3C3D
	s_mul_i32 s60, 2, s60                                      // 00000000377C: 923C3C82
	v_add_u32_e32 v5, s60, v5                                  // 000000003780: 680A0A3C
	v_lshlrev_b32_e32 v5, 2, v5                                // 000000003784: 240A0A82
	s_waitcnt vmcnt(34)                                        // 000000003788: BF8C8F72
	s_barrier                                                  // 00000000378C: BF8A0000
	ds_read_b128 v[160:163], v2                                // 000000003790: D9FE0000 A0000002
	ds_read_b128 v[164:167], v2 offset:64                      // 000000003798: D9FE0040 A4000002
	ds_read_b128 v[168:171], v2 offset:512                     // 0000000037A0: D9FE0200 A8000002
	ds_read_b128 v[172:175], v2 offset:576                     // 0000000037A8: D9FE0240 AC000002
	ds_read_b32 v15, v3 offset:4352                            // 0000000037B0: D86C1100 0F000003
	ds_read_b32 v16, v3 offset:4608                            // 0000000037B8: D86C1200 10000003
	ds_read_b32 v17, v3 offset:4864                            // 0000000037C0: D86C1300 11000003
	ds_read_b32 v18, v3 offset:5120                            // 0000000037C8: D86C1400 12000003
	s_cmp_lt_i32 s7, 2                                         // 0000000037D0: BF048207
	s_cbranch_scc0 label_0B40                                  // 0000000037D4: BF8408CA

00000000000037d8 <label_0276>:
	s_waitcnt vmcnt(28) lgkmcnt(0)                             // 0000000037D8: BF8C407C
	s_barrier                                                  // 0000000037DC: BF8A0000
	v_mfma_f32_16x16x128_f8f6f4 v[144:147], a[0:7], v[160:167], 0// 0000000037E0: D3AD0090 0A034100
	v_mfma_f32_16x16x128_f8f6f4 v[148:151], a[8:15], v[160:167], 0// 0000000037E8: D3AD0094 0A034108
	buffer_load_dwordx4 v31, s[20:23], 0 offen lds             // 0000000037F0: E05D1000 8005001F
	s_add_u32 m0, m0, s76                                      // 0000000037F8: 807C4C7C
	buffer_load_dword v7, s[28:31], 0 offen lds                // 0000000037FC: E0511000 80070007
	s_add_u32 m0, 0, s50                                       // 000000003804: 807C3280
	buffer_load_dword v20, v11, s[32:35], 0 offen              // 000000003808: E0501000 8008140B
	buffer_load_dword v22, v13, s[32:35], 0 offen              // 000000003810: E0501000 8008160D
	buffer_load_dwordx4 a[128:131], v33, s[24:27], 0 offen     // 000000003818: E05C1000 80868021
	buffer_load_dwordx4 a[132:135], v33, s[24:27], 0 offen offset:1024// 000000003820: E05C1400 80868421
	buffer_load_dwordx4 a[136:139], v34, s[24:27], 0 offen     // 000000003828: E05C1000 80868822
	buffer_load_dwordx4 a[140:143], v34, s[24:27], 0 offen offset:1024// 000000003830: E05C1400 80868C22
	s_waitcnt vmcnt(20)                                        // 000000003838: BF8C4F74
	v_mfma_f32_16x16x128_f8f6f4 v[152:155], a[16:23], v[160:167], 0// 00000000383C: D3AD0098 0A034110
	v_mfma_f32_16x16x128_f8f6f4 v[156:159], a[24:31], v[160:167], 0// 000000003844: D3AD009C 0A034118
	buffer_load_dwordx4 a[144:147], v35, s[24:27], 0 offen     // 00000000384C: E05C1000 80869023
	buffer_load_dwordx4 a[148:151], v35, s[24:27], 0 offen offset:1024// 000000003854: E05C1400 80869423
	buffer_load_dwordx4 a[152:155], v36, s[24:27], 0 offen     // 00000000385C: E05C1000 80869824
	buffer_load_dwordx4 a[156:159], v36, s[24:27], 0 offen offset:1024// 000000003864: E05C1400 80869C24
	v_mul_f32_dpp v46, v19, v15 row_newbcast:0 row_mask:0xf bank_mask:0xf// 00000000386C: 0A5C1EFA FF015013
	v_mov_b32_e32 v47, v46                                     // 000000003874: 7E5E032E
	v_pk_fma_f32 v[128:129], v[144:145], v[46:47], v[128:129]  // 000000003878: D3B04080 1E025D90
	v_pk_fma_f32 v[130:131], v[146:147], v[46:47], v[130:131]  // 000000003880: D3B04082 1E0A5D92
	v_pk_fma_f32 v[132:133], v[148:149], v[46:47], v[132:133]  // 000000003888: D3B04084 1E125D94
	v_pk_fma_f32 v[134:135], v[150:151], v[46:47], v[134:135]  // 000000003890: D3B04086 1E1A5D96
	v_mul_f32_dpp v46, v19, v15 row_newbcast:1 row_mask:0xf bank_mask:0xf// 000000003898: 0A5C1EFA FF015113
	v_mov_b32_e32 v47, v46                                     // 0000000038A0: 7E5E032E
	v_pk_fma_f32 v[136:137], v[152:153], v[46:47], v[136:137]  // 0000000038A4: D3B04088 1E225D98
	v_pk_fma_f32 v[138:139], v[154:155], v[46:47], v[138:139]  // 0000000038AC: D3B0408A 1E2A5D9A
	v_pk_fma_f32 v[140:141], v[156:157], v[46:47], v[140:141]  // 0000000038B4: D3B0408C 1E325D9C
	v_pk_fma_f32 v[142:143], v[158:159], v[46:47], v[142:143]  // 0000000038BC: D3B0408E 1E3A5D9E
	s_waitcnt vmcnt(20)                                        // 0000000038C4: BF8C4F74
	v_mfma_f32_16x16x128_f8f6f4 v[144:147], a[32:39], v[168:175], 0// 0000000038C8: D3AD0090 0A035120
	v_mfma_f32_16x16x128_f8f6f4 v[148:151], a[40:47], v[168:175], 0// 0000000038D0: D3AD0094 0A035128
	buffer_load_dwordx4 a[160:163], v33, s[24:27], 0 offen offset:2048// 0000000038D8: E05C1800 8086A021
	buffer_load_dwordx4 a[164:167], v33, s[24:27], 0 offen offset:3072// 0000000038E0: E05C1C00 8086A421
	buffer_load_dwordx4 a[168:171], v34, s[24:27], 0 offen offset:2048// 0000000038E8: E05C1800 8086A822
	buffer_load_dwordx4 a[172:175], v34, s[24:27], 0 offen offset:3072// 0000000038F0: E05C1C00 8086AC22
	s_waitcnt vmcnt(20)                                        // 0000000038F8: BF8C4F74
	v_mfma_f32_16x16x128_f8f6f4 v[152:155], a[48:55], v[168:175], 0// 0000000038FC: D3AD0098 0A035130
	v_mfma_f32_16x16x128_f8f6f4 v[156:159], a[56:63], v[168:175], 0// 000000003904: D3AD009C 0A035138
	buffer_load_dwordx4 a[176:179], v35, s[24:27], 0 offen offset:2048// 00000000390C: E05C1800 8086B023
	buffer_load_dwordx4 a[180:183], v35, s[24:27], 0 offen offset:3072// 000000003914: E05C1C00 8086B423
	buffer_load_dwordx4 a[184:187], v36, s[24:27], 0 offen offset:2048// 00000000391C: E05C1800 8086B824
	buffer_load_dwordx4 a[188:191], v36, s[24:27], 0 offen offset:3072// 000000003924: E05C1C00 8086BC24
	v_mul_f32_dpp v46, v19, v16 row_newbcast:2 row_mask:0xf bank_mask:0xf// 00000000392C: 0A5C20FA FF015213
	v_mov_b32_e32 v47, v46                                     // 000000003934: 7E5E032E
	v_pk_fma_f32 v[128:129], v[144:145], v[46:47], v[128:129]  // 000000003938: D3B04080 1E025D90
	v_pk_fma_f32 v[130:131], v[146:147], v[46:47], v[130:131]  // 000000003940: D3B04082 1E0A5D92
	v_pk_fma_f32 v[132:133], v[148:149], v[46:47], v[132:133]  // 000000003948: D3B04084 1E125D94
	v_pk_fma_f32 v[134:135], v[150:151], v[46:47], v[134:135]  // 000000003950: D3B04086 1E1A5D96
	v_mul_f32_dpp v46, v19, v16 row_newbcast:3 row_mask:0xf bank_mask:0xf// 000000003958: 0A5C20FA FF015313
	v_mov_b32_e32 v47, v46                                     // 000000003960: 7E5E032E
	v_pk_fma_f32 v[136:137], v[152:153], v[46:47], v[136:137]  // 000000003964: D3B04088 1E225D98
	v_pk_fma_f32 v[138:139], v[154:155], v[46:47], v[138:139]  // 00000000396C: D3B0408A 1E2A5D9A
	v_pk_fma_f32 v[140:141], v[156:157], v[46:47], v[140:141]  // 000000003974: D3B0408C 1E325D9C
	v_pk_fma_f32 v[142:143], v[158:159], v[46:47], v[142:143]  // 00000000397C: D3B0408E 1E3A5D9E
	s_add_u32 s60, 0x200, s80                                  // 000000003984: 803C50FF 00000200
	s_cmp_lt_u32 s60, s81                                      // 00000000398C: BF0A513C
	s_cselect_b32 s4, s4, 0                                    // 000000003990: 85048004
	s_add_u32 s32, s4, s32                                     // 000000003994: 80202004
	s_addc_u32 s33, 0, s33                                     // 000000003998: 82212180
	s_waitcnt vmcnt(0)                                         // 00000000399C: BF8C0F70
	s_barrier                                                  // 0000000039A0: BF8A0000
	v_mfma_f32_16x16x128_f8f6f4 v[144:147], a[64:71], v[160:167], 0// 0000000039A4: D3AD0090 0A034140
	v_mfma_f32_16x16x128_f8f6f4 v[148:151], a[72:79], v[160:167], 0// 0000000039AC: D3AD0094 0A034148
	buffer_load_dwordx4 a[192:195], v33, s[92:95], 0 offen     // 0000000039B4: E05C1000 8097C021
	buffer_load_dwordx4 a[196:199], v33, s[92:95], 0 offen offset:1024// 0000000039BC: E05C1400 8097C421
	buffer_load_dwordx4 a[200:203], v34, s[92:95], 0 offen     // 0000000039C4: E05C1000 8097C822
	buffer_load_dwordx4 a[204:207], v34, s[92:95], 0 offen offset:1024// 0000000039CC: E05C1400 8097CC22
	s_waitcnt vmcnt(4)                                         // 0000000039D4: BF8C0F74
	v_mfma_f32_16x16x128_f8f6f4 v[152:155], a[80:87], v[160:167], 0// 0000000039D8: D3AD0098 0A034150
	v_mfma_f32_16x16x128_f8f6f4 v[156:159], a[88:95], v[160:167], 0// 0000000039E0: D3AD009C 0A034158
	buffer_load_dwordx4 a[208:211], v35, s[92:95], 0 offen     // 0000000039E8: E05C1000 8097D023
	buffer_load_dwordx4 a[212:215], v35, s[92:95], 0 offen offset:1024// 0000000039F0: E05C1400 8097D423
	buffer_load_dwordx4 a[216:219], v36, s[92:95], 0 offen     // 0000000039F8: E05C1000 8097D824
	buffer_load_dwordx4 a[220:223], v36, s[92:95], 0 offen offset:1024// 000000003A00: E05C1400 8097DC24
	v_mul_f32_dpp v46, v21, v15 row_newbcast:0 row_mask:0xf bank_mask:0xf// 000000003A08: 0A5C1EFA FF015015
	v_mov_b32_e32 v47, v46                                     // 000000003A10: 7E5E032E
	v_pk_fma_f32 v[64:65], v[144:145], v[46:47], v[64:65]      // 000000003A14: D3B04040 1D025D90
	v_pk_fma_f32 v[66:67], v[146:147], v[46:47], v[66:67]      // 000000003A1C: D3B04042 1D0A5D92
	v_pk_fma_f32 v[68:69], v[148:149], v[46:47], v[68:69]      // 000000003A24: D3B04044 1D125D94
	v_pk_fma_f32 v[70:71], v[150:151], v[46:47], v[70:71]      // 000000003A2C: D3B04046 1D1A5D96
	v_mul_f32_dpp v46, v21, v15 row_newbcast:1 row_mask:0xf bank_mask:0xf// 000000003A34: 0A5C1EFA FF015115
	v_mov_b32_e32 v47, v46                                     // 000000003A3C: 7E5E032E
	v_pk_fma_f32 v[72:73], v[152:153], v[46:47], v[72:73]      // 000000003A40: D3B04048 1D225D98
	v_pk_fma_f32 v[74:75], v[154:155], v[46:47], v[74:75]      // 000000003A48: D3B0404A 1D2A5D9A
	v_pk_fma_f32 v[76:77], v[156:157], v[46:47], v[76:77]      // 000000003A50: D3B0404C 1D325D9C
	v_pk_fma_f32 v[78:79], v[158:159], v[46:47], v[78:79]      // 000000003A58: D3B0404E 1D3A5D9E
	s_waitcnt vmcnt(4)                                         // 000000003A60: BF8C0F74
	v_mfma_f32_16x16x128_f8f6f4 v[144:147], a[96:103], v[168:175], 0// 000000003A64: D3AD0090 0A035160
	ds_read_b128 v[176:179], v2 offset:5376                    // 000000003A6C: D9FE1500 B0000002
	ds_read_b128 v[180:183], v2 offset:5440                    // 000000003A74: D9FE1540 B4000002
	ds_read_b32 v17, v3 offset:9728                            // 000000003A7C: D86C2600 11000003
	v_mfma_f32_16x16x128_f8f6f4 v[148:151], a[104:111], v[168:175], 0// 000000003A84: D3AD0094 0A035168
	buffer_load_dwordx4 a[224:227], v33, s[92:95], 0 offen offset:2048// 000000003A8C: E05C1800 8097E021
	buffer_load_dwordx4 a[228:231], v33, s[92:95], 0 offen offset:3072// 000000003A94: E05C1C00 8097E421
	buffer_load_dwordx4 a[232:235], v34, s[92:95], 0 offen offset:2048// 000000003A9C: E05C1800 8097E822
	buffer_load_dwordx4 a[236:239], v34, s[92:95], 0 offen offset:3072// 000000003AA4: E05C1C00 8097EC22
	s_waitcnt vmcnt(4)                                         // 000000003AAC: BF8C0F74
	v_mfma_f32_16x16x128_f8f6f4 v[152:155], a[112:119], v[168:175], 0// 000000003AB0: D3AD0098 0A035170
	ds_read_b128 v[184:187], v2 offset:5888                    // 000000003AB8: D9FE1700 B8000002
	ds_read_b128 v[188:191], v2 offset:5952                    // 000000003AC0: D9FE1740 BC000002
	ds_read_b32 v18, v3 offset:9984                            // 000000003AC8: D86C2700 12000003
	v_mfma_f32_16x16x128_f8f6f4 v[156:159], a[120:127], v[168:175], 0// 000000003AD0: D3AD009C 0A035178
	buffer_load_dwordx4 a[240:243], v35, s[92:95], 0 offen offset:2048// 000000003AD8: E05C1800 8097F023
	buffer_load_dwordx4 a[244:247], v35, s[92:95], 0 offen offset:3072// 000000003AE0: E05C1C00 8097F423
	buffer_load_dwordx4 a[248:251], v36, s[92:95], 0 offen offset:2048// 000000003AE8: E05C1800 8097F824
	buffer_load_dwordx4 a[252:255], v36, s[92:95], 0 offen offset:3072// 000000003AF0: E05C1C00 8097FC24
	v_mul_f32_dpp v46, v21, v16 row_newbcast:2 row_mask:0xf bank_mask:0xf// 000000003AF8: 0A5C20FA FF015215
	v_mov_b32_e32 v47, v46                                     // 000000003B00: 7E5E032E
	v_pk_fma_f32 v[64:65], v[144:145], v[46:47], v[64:65]      // 000000003B04: D3B04040 1D025D90
	v_pk_fma_f32 v[66:67], v[146:147], v[46:47], v[66:67]      // 000000003B0C: D3B04042 1D0A5D92
	v_pk_fma_f32 v[68:69], v[148:149], v[46:47], v[68:69]      // 000000003B14: D3B04044 1D125D94
	v_pk_fma_f32 v[70:71], v[150:151], v[46:47], v[70:71]      // 000000003B1C: D3B04046 1D1A5D96
	v_mul_f32_dpp v46, v21, v16 row_newbcast:3 row_mask:0xf bank_mask:0xf// 000000003B24: 0A5C20FA FF015315
	v_mov_b32_e32 v47, v46                                     // 000000003B2C: 7E5E032E
	v_pk_fma_f32 v[72:73], v[152:153], v[46:47], v[72:73]      // 000000003B30: D3B04048 1D225D98
	v_pk_fma_f32 v[74:75], v[154:155], v[46:47], v[74:75]      // 000000003B38: D3B0404A 1D2A5D9A
	v_pk_fma_f32 v[76:77], v[156:157], v[46:47], v[76:77]      // 000000003B40: D3B0404C 1D325D9C
	v_pk_fma_f32 v[78:79], v[158:159], v[46:47], v[78:79]      // 000000003B48: D3B0404E 1D3A5D9E
	s_add_u32 s60, 0x200, s80                                  // 000000003B50: 803C50FF 00000200
	s_cmp_lt_u32 s60, s81                                      // 000000003B58: BF0A513C
	s_cselect_b32 s57, s57, 0                                  // 000000003B5C: 85398039
	s_cselect_b32 s3, s3, 0                                    // 000000003B60: 85038003
	s_add_u32 s60, 0x200, s80                                  // 000000003B64: 803C50FF 00000200
	s_cmp_lt_u32 s60, s81                                      // 000000003B6C: BF0A513C
	s_cselect_b32 s58, s58, 0                                  // 000000003B70: 853A803A
	s_cselect_b32 s90, s90, 0                                  // 000000003B74: 855A805A
	s_add_u32 s20, s57, s20                                    // 000000003B78: 80141439
	s_addc_u32 s21, 0, s21                                     // 000000003B7C: 82151580
	s_add_u32 s28, s3, s28                                     // 000000003B80: 801C1C03
	s_addc_u32 s29, 0, s29                                     // 000000003B84: 821D1D80
	s_add_u32 s24, s58, s24                                    // 000000003B88: 8018183A
	s_addc_u32 s25, 0, s25                                     // 000000003B8C: 82191980
	s_add_u32 s92, s90, s92                                    // 000000003B90: 805C5C5A
	s_addc_u32 s93, 0, s93                                     // 000000003B94: 825D5D80
	s_addk_i32 s80, 0x100                                      // 000000003B98: B7500100
	s_cmp_lt_i32 s80, s81                                      // 000000003B9C: BF045150
	s_cbranch_scc0 label_045D                                  // 000000003BA0: BF8400F4
	s_waitcnt vmcnt(28) lgkmcnt(0)                             // 000000003BA4: BF8C407C
	s_barrier                                                  // 000000003BA8: BF8A0000
	v_mfma_f32_16x16x128_f8f6f4 v[144:147], a[128:135], v[176:183], 0// 000000003BAC: D3AD0090 0A036180
	v_mfma_f32_16x16x128_f8f6f4 v[148:151], a[136:143], v[176:183], 0// 000000003BB4: D3AD0094 0A036188
	buffer_load_dwordx4 v31, s[20:23], 0 offen lds             // 000000003BBC: E05D1000 8005001F
	s_add_u32 m0, m0, s76                                      // 000000003BC4: 807C4C7C
	buffer_load_dword v7, s[28:31], 0 offen lds                // 000000003BC8: E0511000 80070007
	s_add_u32 m0, 0, s51                                       // 000000003BD0: 807C3380
	buffer_load_dword v19, v11, s[32:35], 0 offen              // 000000003BD4: E0501000 8008130B
	buffer_load_dword v21, v13, s[32:35], 0 offen              // 000000003BDC: E0501000 8008150D
	buffer_load_dwordx4 a[0:3], v33, s[24:27], 0 offen         // 000000003BE4: E05C1000 80860021
	buffer_load_dwordx4 a[4:7], v33, s[24:27], 0 offen offset:1024// 000000003BEC: E05C1400 80860421
	buffer_load_dwordx4 a[8:11], v34, s[24:27], 0 offen        // 000000003BF4: E05C1000 80860822
	buffer_load_dwordx4 a[12:15], v34, s[24:27], 0 offen offset:1024// 000000003BFC: E05C1400 80860C22
	s_waitcnt vmcnt(20)                                        // 000000003C04: BF8C4F74
	v_mfma_f32_16x16x128_f8f6f4 v[152:155], a[144:151], v[176:183], 0// 000000003C08: D3AD0098 0A036190
	v_mfma_f32_16x16x128_f8f6f4 v[156:159], a[152:159], v[176:183], 0// 000000003C10: D3AD009C 0A036198
	buffer_load_dwordx4 a[16:19], v35, s[24:27], 0 offen       // 000000003C18: E05C1000 80861023
	buffer_load_dwordx4 a[20:23], v35, s[24:27], 0 offen offset:1024// 000000003C20: E05C1400 80861423
	buffer_load_dwordx4 a[24:27], v36, s[24:27], 0 offen       // 000000003C28: E05C1000 80861824
	buffer_load_dwordx4 a[28:31], v36, s[24:27], 0 offen offset:1024// 000000003C30: E05C1400 80861C24
	v_mul_f32_dpp v46, v20, v17 row_newbcast:0 row_mask:0xf bank_mask:0xf// 000000003C38: 0A5C22FA FF015014
	v_mov_b32_e32 v47, v46                                     // 000000003C40: 7E5E032E
	v_pk_fma_f32 v[128:129], v[144:145], v[46:47], v[128:129]  // 000000003C44: D3B04080 1E025D90
	v_pk_fma_f32 v[130:131], v[146:147], v[46:47], v[130:131]  // 000000003C4C: D3B04082 1E0A5D92
	v_pk_fma_f32 v[132:133], v[148:149], v[46:47], v[132:133]  // 000000003C54: D3B04084 1E125D94
	v_pk_fma_f32 v[134:135], v[150:151], v[46:47], v[134:135]  // 000000003C5C: D3B04086 1E1A5D96
	v_mul_f32_dpp v46, v20, v17 row_newbcast:1 row_mask:0xf bank_mask:0xf// 000000003C64: 0A5C22FA FF015114
	v_mov_b32_e32 v47, v46                                     // 000000003C6C: 7E5E032E
	v_pk_fma_f32 v[136:137], v[152:153], v[46:47], v[136:137]  // 000000003C70: D3B04088 1E225D98
	v_pk_fma_f32 v[138:139], v[154:155], v[46:47], v[138:139]  // 000000003C78: D3B0408A 1E2A5D9A
	v_pk_fma_f32 v[140:141], v[156:157], v[46:47], v[140:141]  // 000000003C80: D3B0408C 1E325D9C
	v_pk_fma_f32 v[142:143], v[158:159], v[46:47], v[142:143]  // 000000003C88: D3B0408E 1E3A5D9E
	s_waitcnt vmcnt(20)                                        // 000000003C90: BF8C4F74
	v_mfma_f32_16x16x128_f8f6f4 v[144:147], a[160:167], v[184:191], 0// 000000003C94: D3AD0090 0A0371A0
	v_mfma_f32_16x16x128_f8f6f4 v[148:151], a[168:175], v[184:191], 0// 000000003C9C: D3AD0094 0A0371A8
	buffer_load_dwordx4 a[32:35], v33, s[24:27], 0 offen offset:2048// 000000003CA4: E05C1800 80862021
	buffer_load_dwordx4 a[36:39], v33, s[24:27], 0 offen offset:3072// 000000003CAC: E05C1C00 80862421
	buffer_load_dwordx4 a[40:43], v34, s[24:27], 0 offen offset:2048// 000000003CB4: E05C1800 80862822
	buffer_load_dwordx4 a[44:47], v34, s[24:27], 0 offen offset:3072// 000000003CBC: E05C1C00 80862C22
	s_waitcnt vmcnt(20)                                        // 000000003CC4: BF8C4F74
	v_mfma_f32_16x16x128_f8f6f4 v[152:155], a[176:183], v[184:191], 0// 000000003CC8: D3AD0098 0A0371B0
	v_mfma_f32_16x16x128_f8f6f4 v[156:159], a[184:191], v[184:191], 0// 000000003CD0: D3AD009C 0A0371B8
	buffer_load_dwordx4 a[48:51], v35, s[24:27], 0 offen offset:2048// 000000003CD8: E05C1800 80863023
	buffer_load_dwordx4 a[52:55], v35, s[24:27], 0 offen offset:3072// 000000003CE0: E05C1C00 80863423
	buffer_load_dwordx4 a[56:59], v36, s[24:27], 0 offen offset:2048// 000000003CE8: E05C1800 80863824
	buffer_load_dwordx4 a[60:63], v36, s[24:27], 0 offen offset:3072// 000000003CF0: E05C1C00 80863C24
	v_mul_f32_dpp v46, v20, v18 row_newbcast:2 row_mask:0xf bank_mask:0xf// 000000003CF8: 0A5C24FA FF015214
	v_mov_b32_e32 v47, v46                                     // 000000003D00: 7E5E032E
	v_pk_fma_f32 v[128:129], v[144:145], v[46:47], v[128:129]  // 000000003D04: D3B04080 1E025D90
	v_pk_fma_f32 v[130:131], v[146:147], v[46:47], v[130:131]  // 000000003D0C: D3B04082 1E0A5D92
	v_pk_fma_f32 v[132:133], v[148:149], v[46:47], v[132:133]  // 000000003D14: D3B04084 1E125D94
	v_pk_fma_f32 v[134:135], v[150:151], v[46:47], v[134:135]  // 000000003D1C: D3B04086 1E1A5D96
	v_mul_f32_dpp v46, v20, v18 row_newbcast:3 row_mask:0xf bank_mask:0xf// 000000003D24: 0A5C24FA FF015314
	v_mov_b32_e32 v47, v46                                     // 000000003D2C: 7E5E032E
	v_pk_fma_f32 v[136:137], v[152:153], v[46:47], v[136:137]  // 000000003D30: D3B04088 1E225D98
	v_pk_fma_f32 v[138:139], v[154:155], v[46:47], v[138:139]  // 000000003D38: D3B0408A 1E2A5D9A
	v_pk_fma_f32 v[140:141], v[156:157], v[46:47], v[140:141]  // 000000003D40: D3B0408C 1E325D9C
	v_pk_fma_f32 v[142:143], v[158:159], v[46:47], v[142:143]  // 000000003D48: D3B0408E 1E3A5D9E
	s_add_u32 s60, 0x200, s80                                  // 000000003D50: 803C50FF 00000200
	s_cmp_lt_u32 s60, s81                                      // 000000003D58: BF0A513C
	s_cselect_b32 s4, s4, 0                                    // 000000003D5C: 85048004
	s_add_u32 s32, s4, s32                                     // 000000003D60: 80202004
	s_addc_u32 s33, 0, s33                                     // 000000003D64: 82212180
	s_waitcnt vmcnt(0)                                         // 000000003D68: BF8C0F70
	s_barrier                                                  // 000000003D6C: BF8A0000
	v_mfma_f32_16x16x128_f8f6f4 v[144:147], a[192:199], v[176:183], 0// 000000003D70: D3AD0090 0A0361C0
	v_mfma_f32_16x16x128_f8f6f4 v[148:151], a[200:207], v[176:183], 0// 000000003D78: D3AD0094 0A0361C8
	buffer_load_dwordx4 a[64:67], v33, s[92:95], 0 offen       // 000000003D80: E05C1000 80974021
	buffer_load_dwordx4 a[68:71], v33, s[92:95], 0 offen offset:1024// 000000003D88: E05C1400 80974421
	buffer_load_dwordx4 a[72:75], v34, s[92:95], 0 offen       // 000000003D90: E05C1000 80974822
	buffer_load_dwordx4 a[76:79], v34, s[92:95], 0 offen offset:1024// 000000003D98: E05C1400 80974C22
	s_waitcnt vmcnt(4)                                         // 000000003DA0: BF8C0F74
	v_mfma_f32_16x16x128_f8f6f4 v[152:155], a[208:215], v[176:183], 0// 000000003DA4: D3AD0098 0A0361D0
	v_mfma_f32_16x16x128_f8f6f4 v[156:159], a[216:223], v[176:183], 0// 000000003DAC: D3AD009C 0A0361D8
	buffer_load_dwordx4 a[80:83], v35, s[92:95], 0 offen       // 000000003DB4: E05C1000 80975023
	buffer_load_dwordx4 a[84:87], v35, s[92:95], 0 offen offset:1024// 000000003DBC: E05C1400 80975423
	buffer_load_dwordx4 a[88:91], v36, s[92:95], 0 offen       // 000000003DC4: E05C1000 80975824
	buffer_load_dwordx4 a[92:95], v36, s[92:95], 0 offen offset:1024// 000000003DCC: E05C1400 80975C24
	v_mul_f32_dpp v46, v22, v17 row_newbcast:0 row_mask:0xf bank_mask:0xf// 000000003DD4: 0A5C22FA FF015016
	v_mov_b32_e32 v47, v46                                     // 000000003DDC: 7E5E032E
	v_pk_fma_f32 v[64:65], v[144:145], v[46:47], v[64:65]      // 000000003DE0: D3B04040 1D025D90
	v_pk_fma_f32 v[66:67], v[146:147], v[46:47], v[66:67]      // 000000003DE8: D3B04042 1D0A5D92
	v_pk_fma_f32 v[68:69], v[148:149], v[46:47], v[68:69]      // 000000003DF0: D3B04044 1D125D94
	v_pk_fma_f32 v[70:71], v[150:151], v[46:47], v[70:71]      // 000000003DF8: D3B04046 1D1A5D96
	v_mul_f32_dpp v46, v22, v17 row_newbcast:1 row_mask:0xf bank_mask:0xf// 000000003E00: 0A5C22FA FF015116
	v_mov_b32_e32 v47, v46                                     // 000000003E08: 7E5E032E
	v_pk_fma_f32 v[72:73], v[152:153], v[46:47], v[72:73]      // 000000003E0C: D3B04048 1D225D98
	v_pk_fma_f32 v[74:75], v[154:155], v[46:47], v[74:75]      // 000000003E14: D3B0404A 1D2A5D9A
	v_pk_fma_f32 v[76:77], v[156:157], v[46:47], v[76:77]      // 000000003E1C: D3B0404C 1D325D9C
	v_pk_fma_f32 v[78:79], v[158:159], v[46:47], v[78:79]      // 000000003E24: D3B0404E 1D3A5D9E
	s_waitcnt vmcnt(4)                                         // 000000003E2C: BF8C0F74
	v_mfma_f32_16x16x128_f8f6f4 v[144:147], a[224:231], v[184:191], 0// 000000003E30: D3AD0090 0A0371E0
	ds_read_b128 v[160:163], v2                                // 000000003E38: D9FE0000 A0000002
	ds_read_b128 v[164:167], v2 offset:64                      // 000000003E40: D9FE0040 A4000002
	ds_read_b32 v15, v3 offset:4352                            // 000000003E48: D86C1100 0F000003
	v_mfma_f32_16x16x128_f8f6f4 v[148:151], a[232:239], v[184:191], 0// 000000003E50: D3AD0094 0A0371E8
	buffer_load_dwordx4 a[96:99], v33, s[92:95], 0 offen offset:2048// 000000003E58: E05C1800 80976021
	buffer_load_dwordx4 a[100:103], v33, s[92:95], 0 offen offset:3072// 000000003E60: E05C1C00 80976421
	buffer_load_dwordx4 a[104:107], v34, s[92:95], 0 offen offset:2048// 000000003E68: E05C1800 80976822
	buffer_load_dwordx4 a[108:111], v34, s[92:95], 0 offen offset:3072// 000000003E70: E05C1C00 80976C22
	s_waitcnt vmcnt(4)                                         // 000000003E78: BF8C0F74
	v_mfma_f32_16x16x128_f8f6f4 v[152:155], a[240:247], v[184:191], 0// 000000003E7C: D3AD0098 0A0371F0
	ds_read_b128 v[168:171], v2 offset:512                     // 000000003E84: D9FE0200 A8000002
	ds_read_b128 v[172:175], v2 offset:576                     // 000000003E8C: D9FE0240 AC000002
	ds_read_b32 v16, v3 offset:4608                            // 000000003E94: D86C1200 10000003
	v_mfma_f32_16x16x128_f8f6f4 v[156:159], a[248:255], v[184:191], 0// 000000003E9C: D3AD009C 0A0371F8
	buffer_load_dwordx4 a[112:115], v35, s[92:95], 0 offen offset:2048// 000000003EA4: E05C1800 80977023
	buffer_load_dwordx4 a[116:119], v35, s[92:95], 0 offen offset:3072// 000000003EAC: E05C1C00 80977423
	buffer_load_dwordx4 a[120:123], v36, s[92:95], 0 offen offset:2048// 000000003EB4: E05C1800 80977824
	buffer_load_dwordx4 a[124:127], v36, s[92:95], 0 offen offset:3072// 000000003EBC: E05C1C00 80977C24
	v_mul_f32_dpp v46, v22, v18 row_newbcast:2 row_mask:0xf bank_mask:0xf// 000000003EC4: 0A5C24FA FF015216
	v_mov_b32_e32 v47, v46                                     // 000000003ECC: 7E5E032E
	v_pk_fma_f32 v[64:65], v[144:145], v[46:47], v[64:65]      // 000000003ED0: D3B04040 1D025D90
	v_pk_fma_f32 v[66:67], v[146:147], v[46:47], v[66:67]      // 000000003ED8: D3B04042 1D0A5D92
	v_pk_fma_f32 v[68:69], v[148:149], v[46:47], v[68:69]      // 000000003EE0: D3B04044 1D125D94
	v_pk_fma_f32 v[70:71], v[150:151], v[46:47], v[70:71]      // 000000003EE8: D3B04046 1D1A5D96
	v_mul_f32_dpp v46, v22, v18 row_newbcast:3 row_mask:0xf bank_mask:0xf// 000000003EF0: 0A5C24FA FF015316
	v_mov_b32_e32 v47, v46                                     // 000000003EF8: 7E5E032E
	v_pk_fma_f32 v[72:73], v[152:153], v[46:47], v[72:73]      // 000000003EFC: D3B04048 1D225D98
	v_pk_fma_f32 v[74:75], v[154:155], v[46:47], v[74:75]      // 000000003F04: D3B0404A 1D2A5D9A
	v_pk_fma_f32 v[76:77], v[156:157], v[46:47], v[76:77]      // 000000003F0C: D3B0404C 1D325D9C
	v_pk_fma_f32 v[78:79], v[158:159], v[46:47], v[78:79]      // 000000003F14: D3B0404E 1D3A5D9E
	s_add_u32 s60, 0x200, s80                                  // 000000003F1C: 803C50FF 00000200
	s_cmp_lt_u32 s60, s81                                      // 000000003F24: BF0A513C
	s_cselect_b32 s57, s57, 0                                  // 000000003F28: 85398039
	s_cselect_b32 s3, s3, 0                                    // 000000003F2C: 85038003
	s_add_u32 s60, 0x200, s80                                  // 000000003F30: 803C50FF 00000200
	s_cmp_lt_u32 s60, s81                                      // 000000003F38: BF0A513C
	s_cselect_b32 s58, s58, 0                                  // 000000003F3C: 853A803A
	s_cselect_b32 s90, s90, 0                                  // 000000003F40: 855A805A
	s_add_u32 s20, s57, s20                                    // 000000003F44: 80141439
	s_addc_u32 s21, 0, s21                                     // 000000003F48: 82151580
	s_add_u32 s28, s3, s28                                     // 000000003F4C: 801C1C03
	s_addc_u32 s29, 0, s29                                     // 000000003F50: 821D1D80
	s_add_u32 s24, s58, s24                                    // 000000003F54: 8018183A
	s_addc_u32 s25, 0, s25                                     // 000000003F58: 82191980
	s_add_u32 s92, s90, s92                                    // 000000003F5C: 805C5C5A
	s_addc_u32 s93, 0, s93                                     // 000000003F60: 825D5D80
	s_addk_i32 s80, 0x100                                      // 000000003F64: B7500100
	s_cmp_lt_i32 s80, s81                                      // 000000003F68: BF045150
	s_cbranch_scc0 label_045D                                  // 000000003F6C: BF840001
	s_branch label_0276                                        // 000000003F70: BF82FE19

0000000000003f74 <label_045D>:
	s_mov_b32 s20, 0                                           // 000000003F74: BE940080
	s_cmp_lt_u32 s89, s66                                      // 000000003F78: BF0A4259
	s_cselect_b32 s60, 0, 1                                    // 000000003F7C: 853C8180
	s_lshl1_add_u32 s20, s20, s60                              // 000000003F80: 97143C14
	s_cmp_lt_u32 s88, s66                                      // 000000003F84: BF0A4258
	s_cselect_b32 s60, 0, 1                                    // 000000003F88: 853C8180
	s_lshl1_add_u32 s20, s20, s60                              // 000000003F8C: 97143C14
	s_cmp_lt_u32 s87, s66                                      // 000000003F90: BF0A4257
	s_cselect_b32 s60, 0, 1                                    // 000000003F94: 853C8180
	s_lshl1_add_u32 s20, s20, s60                              // 000000003F98: 97143C14
	s_cmp_lt_u32 s86, s66                                      // 000000003F9C: BF0A4256
	s_cselect_b32 s60, 0, 1                                    // 000000003FA0: 853C8180
	s_lshl1_add_u32 s20, s20, s60                              // 000000003FA4: 97143C14
	s_cmp_lt_u32 s85, s66                                      // 000000003FA8: BF0A4255
	s_cselect_b32 s60, 0, 1                                    // 000000003FAC: 853C8180
	s_lshl1_add_u32 s20, s20, s60                              // 000000003FB0: 97143C14
	s_cmp_lt_u32 s84, s66                                      // 000000003FB4: BF0A4254
	s_cselect_b32 s60, 0, 1                                    // 000000003FB8: 853C8180
	s_lshl1_add_u32 s20, s20, s60                              // 000000003FBC: 97143C14
	s_cmp_lt_u32 s83, s66                                      // 000000003FC0: BF0A4253
	s_cselect_b32 s60, 0, 1                                    // 000000003FC4: 853C8180
	s_lshl1_add_u32 s20, s20, s60                              // 000000003FC8: 97143C14
	s_cmp_lt_u32 s82, s66                                      // 000000003FCC: BF0A4252
	s_cselect_b32 s60, 0, 1                                    // 000000003FD0: 853C8180
	s_lshl1_add_u32 s20, s20, s60                              // 000000003FD4: 97143C14
	s_waitcnt vmcnt(12)                                        // 000000003FD8: BF8C0F7C
	buffer_load_dword v19, v6, s[16:19], 0 offen               // 000000003FDC: E0501000 80041306
	s_add_u32 s16, s79, s16                                    // 000000003FE4: 8010104F
	s_addc_u32 s17, 0, s17                                     // 000000003FE8: 82111180
	buffer_load_dwordx4 a[0:3], v37, s[12:15], 0 offen         // 000000003FEC: E05C1000 80830025
	buffer_load_dwordx4 a[4:7], v37, s[12:15], 0 offen offset:1024// 000000003FF4: E05C1400 80830425
	buffer_load_dwordx4 a[8:11], v38, s[12:15], 0 offen        // 000000003FFC: E05C1000 80830826
	buffer_load_dwordx4 a[12:15], v38, s[12:15], 0 offen offset:1024// 000000004004: E05C1400 80830C26
	v_mul_f32_e64 v46, -v128, s6                               // 00000000400C: D105002E 20000D80
	v_mul_f32_e64 v47, -v129, s6                               // 000000004014: D105002F 20000D81
	v_mul_f32_e64 v48, -v130, s6                               // 00000000401C: D1050030 20000D82
	v_mul_f32_e64 v49, -v131, s6                               // 000000004024: D1050031 20000D83
	v_exp_f32_e32 v46, v46                                     // 00000000402C: 7E5C412E
	v_exp_f32_e32 v47, v47                                     // 000000004030: 7E5E412F
	v_exp_f32_e32 v48, v48                                     // 000000004034: 7E604130
	v_exp_f32_e32 v49, v49                                     // 000000004038: 7E624131
	buffer_load_dwordx4 a[16:19], v39, s[12:15], 0 offen       // 00000000403C: E05C1000 80831027
	buffer_load_dwordx4 a[20:23], v39, s[12:15], 0 offen offset:1024// 000000004044: E05C1400 80831427
	buffer_load_dwordx4 a[24:27], v40, s[12:15], 0 offen       // 00000000404C: E05C1000 80831828
	buffer_load_dwordx4 a[28:31], v40, s[12:15], 0 offen offset:1024// 000000004054: E05C1400 80831C28
	s_add_u32 s12, s78, s12                                    // 00000000405C: 800C0C4E
	s_addc_u32 s13, 0, s13                                     // 000000004060: 820D0D80
	v_add_f32_e64 v46, v46, 1.0                                // 000000004064: D101002E 0001E52E
	v_add_f32_e64 v47, v47, 1.0                                // 00000000406C: D101002F 0001E52F
	v_add_f32_e64 v48, v48, 1.0                                // 000000004074: D1010030 0001E530
	v_add_f32_e64 v49, v49, 1.0                                // 00000000407C: D1010031 0001E531
	v_rcp_f32_e32 v46, v46                                     // 000000004084: 7E5C452E
	v_rcp_f32_e32 v47, v47                                     // 000000004088: 7E5E452F
	v_rcp_f32_e32 v48, v48                                     // 00000000408C: 7E604530
	v_rcp_f32_e32 v49, v49                                     // 000000004090: 7E624531
	v_mul_f32_e32 v128, v128, v46                              // 000000004094: 0B005D80
	v_mul_f32_e32 v129, v129, v47                              // 000000004098: 0B025F81
	v_mul_f32_e32 v130, v130, v48                              // 00000000409C: 0B046182
	v_mul_f32_e32 v131, v131, v49                              // 0000000040A0: 0B066383
	v_mul_f32_e32 v128, v128, v64                              // 0000000040A4: 0B008180
	v_mul_f32_e32 v129, v129, v65                              // 0000000040A8: 0B028381
	v_mul_f32_e32 v130, v130, v66                              // 0000000040AC: 0B048582
	v_mul_f32_e32 v131, v131, v67                              // 0000000040B0: 0B068783
	s_waitcnt vmcnt(12)                                        // 0000000040B4: BF8C0F7C
	buffer_load_dwordx4 a[32:35], v37, s[12:15], 0 offen       // 0000000040B8: E05C1000 80832025
	buffer_load_dwordx4 a[36:39], v37, s[12:15], 0 offen offset:1024// 0000000040C0: E05C1400 80832425
	buffer_load_dwordx4 a[40:43], v38, s[12:15], 0 offen       // 0000000040C8: E05C1000 80832826
	buffer_load_dwordx4 a[44:47], v38, s[12:15], 0 offen offset:1024// 0000000040D0: E05C1400 80832C26
	v_mul_f32_e64 v46, -v132, s6                               // 0000000040D8: D105002E 20000D84
	v_mul_f32_e64 v47, -v133, s6                               // 0000000040E0: D105002F 20000D85
	v_mul_f32_e64 v48, -v134, s6                               // 0000000040E8: D1050030 20000D86
	v_mul_f32_e64 v49, -v135, s6                               // 0000000040F0: D1050031 20000D87
	v_exp_f32_e32 v46, v46                                     // 0000000040F8: 7E5C412E
	v_exp_f32_e32 v47, v47                                     // 0000000040FC: 7E5E412F
	v_exp_f32_e32 v48, v48                                     // 000000004100: 7E604130
	v_exp_f32_e32 v49, v49                                     // 000000004104: 7E624131
	buffer_load_dwordx4 a[48:51], v39, s[12:15], 0 offen       // 000000004108: E05C1000 80833027
	buffer_load_dwordx4 a[52:55], v39, s[12:15], 0 offen offset:1024// 000000004110: E05C1400 80833427
	buffer_load_dwordx4 a[56:59], v40, s[12:15], 0 offen       // 000000004118: E05C1000 80833828
	buffer_load_dwordx4 a[60:63], v40, s[12:15], 0 offen offset:1024// 000000004120: E05C1400 80833C28
	s_add_u32 s12, s56, s12                                    // 000000004128: 800C0C38
	s_addc_u32 s13, 0, s13                                     // 00000000412C: 820D0D80
	v_add_f32_e64 v46, v46, 1.0                                // 000000004130: D101002E 0001E52E
	v_add_f32_e64 v47, v47, 1.0                                // 000000004138: D101002F 0001E52F
	v_add_f32_e64 v48, v48, 1.0                                // 000000004140: D1010030 0001E530
	v_add_f32_e64 v49, v49, 1.0                                // 000000004148: D1010031 0001E531
	v_rcp_f32_e32 v46, v46                                     // 000000004150: 7E5C452E
	v_rcp_f32_e32 v47, v47                                     // 000000004154: 7E5E452F
	v_rcp_f32_e32 v48, v48                                     // 000000004158: 7E604530
	v_rcp_f32_e32 v49, v49                                     // 00000000415C: 7E624531
	v_mul_f32_e32 v132, v132, v46                              // 000000004160: 0B085D84
	v_mul_f32_e32 v133, v133, v47                              // 000000004164: 0B0A5F85
	v_mul_f32_e32 v134, v134, v48                              // 000000004168: 0B0C6186
	v_mul_f32_e32 v135, v135, v49                              // 00000000416C: 0B0E6387
	v_mul_f32_e32 v132, v132, v68                              // 000000004170: 0B088984
	v_mul_f32_e32 v133, v133, v69                              // 000000004174: 0B0A8B85
	v_mul_f32_e32 v134, v134, v70                              // 000000004178: 0B0C8D86
	v_mul_f32_e32 v135, v135, v71                              // 00000000417C: 0B0E8F87
	s_waitcnt vmcnt(12)                                        // 000000004180: BF8C0F7C
	buffer_load_dword v20, v6, s[16:19], 0 offen               // 000000004184: E0501000 80041406
	s_add_u32 s16, s79, s16                                    // 00000000418C: 8010104F
	s_addc_u32 s17, 0, s17                                     // 000000004190: 82111180
	buffer_load_dwordx4 a[64:67], v37, s[12:15], 0 offen       // 000000004194: E05C1000 80834025
	buffer_load_dwordx4 a[68:71], v37, s[12:15], 0 offen offset:1024// 00000000419C: E05C1400 80834425
	buffer_load_dwordx4 a[72:75], v38, s[12:15], 0 offen       // 0000000041A4: E05C1000 80834826
	buffer_load_dwordx4 a[76:79], v38, s[12:15], 0 offen offset:1024// 0000000041AC: E05C1400 80834C26
	v_mul_f32_e64 v46, -v136, s6                               // 0000000041B4: D105002E 20000D88
	v_mul_f32_e64 v47, -v137, s6                               // 0000000041BC: D105002F 20000D89
	v_mul_f32_e64 v48, -v138, s6                               // 0000000041C4: D1050030 20000D8A
	v_mul_f32_e64 v49, -v139, s6                               // 0000000041CC: D1050031 20000D8B
	v_exp_f32_e32 v46, v46                                     // 0000000041D4: 7E5C412E
	v_exp_f32_e32 v47, v47                                     // 0000000041D8: 7E5E412F
	v_exp_f32_e32 v48, v48                                     // 0000000041DC: 7E604130
	v_exp_f32_e32 v49, v49                                     // 0000000041E0: 7E624131
	buffer_load_dwordx4 a[80:83], v39, s[12:15], 0 offen       // 0000000041E4: E05C1000 80835027
	buffer_load_dwordx4 a[84:87], v39, s[12:15], 0 offen offset:1024// 0000000041EC: E05C1400 80835427
	buffer_load_dwordx4 a[88:91], v40, s[12:15], 0 offen       // 0000000041F4: E05C1000 80835828
	buffer_load_dwordx4 a[92:95], v40, s[12:15], 0 offen offset:1024// 0000000041FC: E05C1400 80835C28
	s_add_u32 s12, s78, s12                                    // 000000004204: 800C0C4E
	s_addc_u32 s13, 0, s13                                     // 000000004208: 820D0D80
	v_add_f32_e64 v46, v46, 1.0                                // 00000000420C: D101002E 0001E52E
	v_add_f32_e64 v47, v47, 1.0                                // 000000004214: D101002F 0001E52F
	v_add_f32_e64 v48, v48, 1.0                                // 00000000421C: D1010030 0001E530
	v_add_f32_e64 v49, v49, 1.0                                // 000000004224: D1010031 0001E531
	v_rcp_f32_e32 v46, v46                                     // 00000000422C: 7E5C452E
	v_rcp_f32_e32 v47, v47                                     // 000000004230: 7E5E452F
	v_rcp_f32_e32 v48, v48                                     // 000000004234: 7E604530
	v_rcp_f32_e32 v49, v49                                     // 000000004238: 7E624531
	v_mul_f32_e32 v136, v136, v46                              // 00000000423C: 0B105D88
	v_mul_f32_e32 v137, v137, v47                              // 000000004240: 0B125F89
	v_mul_f32_e32 v138, v138, v48                              // 000000004244: 0B14618A
	v_mul_f32_e32 v139, v139, v49                              // 000000004248: 0B16638B
	v_mul_f32_e32 v136, v136, v72                              // 00000000424C: 0B109188
	v_mul_f32_e32 v137, v137, v73                              // 000000004250: 0B129389
	v_mul_f32_e32 v138, v138, v74                              // 000000004254: 0B14958A
	v_mul_f32_e32 v139, v139, v75                              // 000000004258: 0B16978B
	s_waitcnt vmcnt(12)                                        // 00000000425C: BF8C0F7C
	buffer_load_dwordx4 a[96:99], v37, s[12:15], 0 offen       // 000000004260: E05C1000 80836025
	buffer_load_dwordx4 a[100:103], v37, s[12:15], 0 offen offset:1024// 000000004268: E05C1400 80836425
	buffer_load_dwordx4 a[104:107], v38, s[12:15], 0 offen     // 000000004270: E05C1000 80836826
	buffer_load_dwordx4 a[108:111], v38, s[12:15], 0 offen offset:1024// 000000004278: E05C1400 80836C26
	v_mul_f32_e64 v46, -v140, s6                               // 000000004280: D105002E 20000D8C
	v_mul_f32_e64 v47, -v141, s6                               // 000000004288: D105002F 20000D8D
	v_mul_f32_e64 v48, -v142, s6                               // 000000004290: D1050030 20000D8E
	v_mul_f32_e64 v49, -v143, s6                               // 000000004298: D1050031 20000D8F
	v_exp_f32_e32 v46, v46                                     // 0000000042A0: 7E5C412E
	v_exp_f32_e32 v47, v47                                     // 0000000042A4: 7E5E412F
	v_exp_f32_e32 v48, v48                                     // 0000000042A8: 7E604130
	v_exp_f32_e32 v49, v49                                     // 0000000042AC: 7E624131
	buffer_load_dwordx4 a[112:115], v39, s[12:15], 0 offen     // 0000000042B0: E05C1000 80837027
	buffer_load_dwordx4 a[116:119], v39, s[12:15], 0 offen offset:1024// 0000000042B8: E05C1400 80837427
	buffer_load_dwordx4 a[120:123], v40, s[12:15], 0 offen     // 0000000042C0: E05C1000 80837828
	buffer_load_dwordx4 a[124:127], v40, s[12:15], 0 offen offset:1024// 0000000042C8: E05C1400 80837C28
	s_add_u32 s12, s56, s12                                    // 0000000042D0: 800C0C38
	s_addc_u32 s13, 0, s13                                     // 0000000042D4: 820D0D80
	v_add_f32_e64 v46, v46, 1.0                                // 0000000042D8: D101002E 0001E52E
	v_add_f32_e64 v47, v47, 1.0                                // 0000000042E0: D101002F 0001E52F
	v_add_f32_e64 v48, v48, 1.0                                // 0000000042E8: D1010030 0001E530
	v_add_f32_e64 v49, v49, 1.0                                // 0000000042F0: D1010031 0001E531
	v_rcp_f32_e32 v46, v46                                     // 0000000042F8: 7E5C452E
	v_rcp_f32_e32 v47, v47                                     // 0000000042FC: 7E5E452F
	v_rcp_f32_e32 v48, v48                                     // 000000004300: 7E604530
	v_rcp_f32_e32 v49, v49                                     // 000000004304: 7E624531
	v_mul_f32_e32 v140, v140, v46                              // 000000004308: 0B185D8C
	v_mul_f32_e32 v141, v141, v47                              // 00000000430C: 0B1A5F8D
	v_mul_f32_e32 v142, v142, v48                              // 000000004310: 0B1C618E
	v_mul_f32_e32 v143, v143, v49                              // 000000004314: 0B1E638F
	v_mul_f32_e32 v140, v140, v76                              // 000000004318: 0B18998C
	v_mul_f32_e32 v141, v141, v77                              // 00000000431C: 0B1A9B8D
	v_mul_f32_e32 v142, v142, v78                              // 000000004320: 0B1C9D8E
	v_mul_f32_e32 v143, v143, v79                              // 000000004324: 0B1E9F8F
	v_lshlrev_b32_e32 v46, 2, v0                               // 000000004328: 245C0082
	s_mul_i32 s60, s82, s71                                    // 00000000432C: 923C4752
	v_add_u32_e64 v80, v46, s60                                // 000000004330: D1340050 0000792E
	v_mov_b32_e32 v81, 0                                       // 000000004338: 7EA20280
	s_mul_i32 s60, s83, s71                                    // 00000000433C: 923C4753
	v_add_u32_e64 v82, v46, s60                                // 000000004340: D1340052 0000792E
	v_mov_b32_e32 v83, 0                                       // 000000004348: 7EA60280
	s_mul_i32 s60, s84, s71                                    // 00000000434C: 923C4754
	v_add_u32_e64 v84, v46, s60                                // 000000004350: D1340054 0000792E
	v_mov_b32_e32 v85, 0                                       // 000000004358: 7EAA0280
	s_mul_i32 s60, s85, s71                                    // 00000000435C: 923C4755
	v_add_u32_e64 v86, v46, s60                                // 000000004360: D1340056 0000792E
	v_mov_b32_e32 v87, 0                                       // 000000004368: 7EAE0280
	v_mov_b32_e32 v26, 0x358637bd                              // 00000000436C: 7E3402FF 358637BD
	v_max3_f32 v26, |v128|, |v129|, v26                        // 000000004374: D1D3031A 046B0380
	v_max3_f32 v26, |v130|, |v131|, v26                        // 00000000437C: D1D3031A 046B0782
	v_max3_f32 v26, |v132|, |v133|, v26                        // 000000004384: D1D3031A 046B0B84
	v_max3_f32 v26, |v134|, |v135|, v26                        // 00000000438C: D1D3031A 046B0F86
	v_mov_b32_e32 v46, v26                                     // 000000004394: 7E5C031A
	s_nop 1                                                    // 000000004398: BF800001
	v_permlane32_swap_b32_e32 v46, v26                         // 00000000439C: 7E5CB51A
	v_max_f32_e32 v26, v46, v26                                // 0000000043A0: 1634352E
	v_mov_b32_e32 v46, v26                                     // 0000000043A4: 7E5C031A
	s_nop 1                                                    // 0000000043A8: BF800001
	v_permlane16_swap_b32_e32 v46, v26                         // 0000000043AC: 7E5CB31A
	v_max_f32_e32 v26, v46, v26                                // 0000000043B0: 1634352E
	v_lshlrev_b32_e32 v46, 2, v0                               // 0000000043B4: 245C0082
	s_mul_i32 s60, 64, s7                                      // 0000000043B8: 923C07C0
	v_add_u32_e32 v46, s60, v46                                // 0000000043BC: 685C5C3C
	s_mov_b32 s60, 0xffff                                      // 0000000043C0: BEBC00FF 0000FFFF
	s_mov_b32 s61, 0                                           // 0000000043C8: BEBD0080
	s_mov_b64 exec, s[60:61]                                   // 0000000043CC: BEFE013C
	ds_write_b32 v46, v26 offset:10752                         // 0000000043D0: D81A2A00 00001A2E
	s_mov_b32 s60, -1                                          // 0000000043D8: BEBC00C1
	s_mov_b32 s61, -1                                          // 0000000043DC: BEBD00C1
	s_mov_b64 exec, s[60:61]                                   // 0000000043E0: BEFE013C
	s_waitcnt lgkmcnt(0)                                       // 0000000043E4: BF8CC07F
	s_barrier                                                  // 0000000043E8: BF8A0000
	v_lshlrev_b32_e32 v46, 2, v0                               // 0000000043EC: 245C0082
	ds_read_b32 v144, v46 offset:10752                         // 0000000043F0: D86C2A00 9000002E
	s_waitcnt lgkmcnt(0)                                       // 0000000043F8: BF8CC07F
	v_mov_b32_e32 v46, v144                                    // 0000000043FC: 7E5C0390
	s_nop 1                                                    // 000000004400: BF800001
	v_permlane32_swap_b32_e32 v46, v144                        // 000000004404: 7E5CB590
	v_max_f32_e32 v144, v46, v144                              // 000000004408: 1721212E
	v_mov_b32_e32 v46, v144                                    // 00000000440C: 7E5C0390
	s_nop 1                                                    // 000000004410: BF800001
	v_permlane16_swap_b32_e32 v46, v144                        // 000000004414: 7E5CB390
	v_max_f32_e32 v144, v46, v144                              // 000000004418: 1721212E
	v_max_f32_e32 v26, v144, v26                               // 00000000441C: 16343590
	v_rcp_f32_e32 v26, v26                                     // 000000004420: 7E34451A
	v_mov_b32_e32 v46, 0x43e00000                              // 000000004424: 7E5C02FF 43E00000
	v_mul_f32_e32 v26, v46, v26                                // 00000000442C: 0A34352E
	v_mul_f32_e32 v128, v26, v128                              // 000000004430: 0B01011A
	v_mul_f32_e32 v129, v26, v129                              // 000000004434: 0B03031A
	v_mul_f32_e32 v130, v26, v130                              // 000000004438: 0B05051A
	v_mul_f32_e32 v131, v26, v131                              // 00000000443C: 0B07071A
	v_cvt_pk_fp8_f32 v128, v128, v129                          // 000000004440: D2A20080 00030380
	v_cvt_pk_fp8_f32 v128, v130, v131 op_sel:[0,0,1]           // 000000004448: D2A24080 00030782
	v_mul_f32_e32 v132, v26, v132                              // 000000004450: 0B09091A
	v_mul_f32_e32 v133, v26, v133                              // 000000004454: 0B0B0B1A
	v_mul_f32_e32 v134, v26, v134                              // 000000004458: 0B0D0D1A
	v_mul_f32_e32 v135, v26, v135                              // 00000000445C: 0B0F0F1A
	v_cvt_pk_fp8_f32 v129, v132, v133                          // 000000004460: D2A20081 00030B84
	v_cvt_pk_fp8_f32 v129, v134, v135 op_sel:[0,0,1]           // 000000004468: D2A24081 00030F86
	v_rcp_f32_e32 v28, v26                                     // 000000004470: 7E38451A
	v_nop                                                      // 000000004474: 7E000000
	v_mov_b32_e32 v26, 0x358637bd                              // 000000004478: 7E3402FF 358637BD
	v_max3_f32 v26, |v136|, |v137|, v26                        // 000000004480: D1D3031A 046B1388
	v_max3_f32 v26, |v138|, |v139|, v26                        // 000000004488: D1D3031A 046B178A
	v_max3_f32 v26, |v140|, |v141|, v26                        // 000000004490: D1D3031A 046B1B8C
	v_max3_f32 v26, |v142|, |v143|, v26                        // 000000004498: D1D3031A 046B1F8E
	v_mov_b32_e32 v46, v26                                     // 0000000044A0: 7E5C031A
	s_nop 1                                                    // 0000000044A4: BF800001
	v_permlane32_swap_b32_e32 v46, v26                         // 0000000044A8: 7E5CB51A
	v_max_f32_e32 v26, v46, v26                                // 0000000044AC: 1634352E
	v_mov_b32_e32 v46, v26                                     // 0000000044B0: 7E5C031A
	s_nop 1                                                    // 0000000044B4: BF800001
	v_permlane16_swap_b32_e32 v46, v26                         // 0000000044B8: 7E5CB31A
	v_max_f32_e32 v26, v46, v26                                // 0000000044BC: 1634352E
	v_lshlrev_b32_e32 v46, 2, v0                               // 0000000044C0: 245C0082
	s_mul_i32 s60, 64, s7                                      // 0000000044C4: 923C07C0
	v_add_u32_e32 v46, s60, v46                                // 0000000044C8: 685C5C3C
	s_mov_b32 s60, 0xffff                                      // 0000000044CC: BEBC00FF 0000FFFF
	s_mov_b32 s61, 0                                           // 0000000044D4: BEBD0080
	s_mov_b64 exec, s[60:61]                                   // 0000000044D8: BEFE013C
	ds_write_b32 v46, v26 offset:10752                         // 0000000044DC: D81A2A00 00001A2E
	s_mov_b32 s60, -1                                          // 0000000044E4: BEBC00C1
	s_mov_b32 s61, -1                                          // 0000000044E8: BEBD00C1
	s_mov_b64 exec, s[60:61]                                   // 0000000044EC: BEFE013C
	s_waitcnt lgkmcnt(0)                                       // 0000000044F0: BF8CC07F
	s_barrier                                                  // 0000000044F4: BF8A0000
	v_lshlrev_b32_e32 v46, 2, v0                               // 0000000044F8: 245C0082
	ds_read_b32 v144, v46 offset:10752                         // 0000000044FC: D86C2A00 9000002E
	s_waitcnt lgkmcnt(0)                                       // 000000004504: BF8CC07F
	v_mov_b32_e32 v46, v144                                    // 000000004508: 7E5C0390
	s_nop 1                                                    // 00000000450C: BF800001
	v_permlane32_swap_b32_e32 v46, v144                        // 000000004510: 7E5CB590
	v_max_f32_e32 v144, v46, v144                              // 000000004514: 1721212E
	v_mov_b32_e32 v46, v144                                    // 000000004518: 7E5C0390
	s_nop 1                                                    // 00000000451C: BF800001
	v_permlane16_swap_b32_e32 v46, v144                        // 000000004520: 7E5CB390
	v_max_f32_e32 v144, v46, v144                              // 000000004524: 1721212E
	v_max_f32_e32 v26, v144, v26                               // 000000004528: 16343590
	v_rcp_f32_e32 v26, v26                                     // 00000000452C: 7E34451A
	v_mov_b32_e32 v46, 0x43e00000                              // 000000004530: 7E5C02FF 43E00000
	v_mul_f32_e32 v26, v46, v26                                // 000000004538: 0A34352E
	v_mul_f32_e32 v136, v26, v136                              // 00000000453C: 0B11111A
	v_mul_f32_e32 v137, v26, v137                              // 000000004540: 0B13131A
	v_mul_f32_e32 v138, v26, v138                              // 000000004544: 0B15151A
	v_mul_f32_e32 v139, v26, v139                              // 000000004548: 0B17171A
	v_cvt_pk_fp8_f32 v130, v136, v137                          // 00000000454C: D2A20082 00031388
	v_cvt_pk_fp8_f32 v130, v138, v139 op_sel:[0,0,1]           // 000000004554: D2A24082 0003178A
	v_mul_f32_e32 v140, v26, v140                              // 00000000455C: 0B19191A
	v_mul_f32_e32 v141, v26, v141                              // 000000004560: 0B1B1B1A
	v_mul_f32_e32 v142, v26, v142                              // 000000004564: 0B1D1D1A
	v_mul_f32_e32 v143, v26, v143                              // 000000004568: 0B1F1F1A
	v_cvt_pk_fp8_f32 v131, v140, v141                          // 00000000456C: D2A20083 00031B8C
	v_cvt_pk_fp8_f32 v131, v142, v143 op_sel:[0,0,1]           // 000000004574: D2A24083 00031F8E
	v_rcp_f32_e32 v29, v26                                     // 00000000457C: 7E3A451A
	v_nop                                                      // 000000004580: 7E000000
	v_lshrrev_b32_e32 v46, 5, v0                               // 000000004584: 205C0085
	v_lshlrev_b32_e32 v47, 6, v46                              // 000000004588: 245E5C86
	v_and_b32_e32 v46, 31, v0                                  // 00000000458C: 265C009F
	v_lshrrev_b32_e32 v48, 4, v46                              // 000000004590: 20605C84
	v_add_u32_e32 v47, v48, v47                                // 000000004594: 685E5F30
	v_and_b32_e32 v46, 15, v0                                  // 000000004598: 265C008F
	v_lshlrev_b32_e32 v46, 1, v46                              // 00000000459C: 245C5C81
	v_add_u32_e32 v47, v46, v47                                // 0000000045A0: 685E5F2E
	v_lshlrev_b32_e32 v46, 2, v47                              // 0000000045A4: 245C5E82
	s_mov_b32 s60, 0                                           // 0000000045A8: BEBC0080
	s_lshr_b32 s61, s7, 1                                      // 0000000045AC: 8F3D8107
	s_mul_i32 s61, s61, 0x200                                  // 0000000045B0: 923DFF3D 00000200
	s_add_u32 s60, s61, s60                                    // 0000000045B8: 803C3C3D
	s_and_b32 s61, s7, 1                                       // 0000000045BC: 863D8107
	s_mul_i32 s61, s61, 0x80                                   // 0000000045C0: 923DFF3D 00000080
	s_add_u32 s60, s61, s60                                    // 0000000045C8: 803C3C3D
	v_add_u32_e64 v46, v46, s60                                // 0000000045CC: D134002E 0000792E
	ds_write_b32 v46, v128 offset:11776                        // 0000000045D4: D81A2E00 0000802E
	ds_write_b32 v46, v129 offset:12800                        // 0000000045DC: D81A3200 0000812E
	ds_write_b32 v46, v130 offset:13824                        // 0000000045E4: D81A3600 0000822E
	ds_write_b32 v46, v131 offset:14848                        // 0000000045EC: D81A3A00 0000832E
	s_waitcnt lgkmcnt(0)                                       // 0000000045F4: BF8CC07F
	s_barrier                                                  // 0000000045F8: BF8A0000
	v_and_b32_e32 v46, 31, v0                                  // 0000000045FC: 265C009F
	v_lshrrev_b32_e32 v46, 4, v46                              // 000000004600: 205C5C84
	v_lshlrev_b32_e32 v47, 5, v46                              // 000000004604: 245E5C85
	v_lshrrev_b32_e32 v46, 5, v0                               // 000000004608: 205C0085
	v_lshlrev_b32_e32 v46, 7, v46                              // 00000000460C: 245C5C87
	v_add_u32_e32 v47, v46, v47                                // 000000004610: 685E5F2E
	v_and_b32_e32 v46, 15, v0                                  // 000000004614: 265C008F
	v_lshlrev_b32_e32 v46, 1, v46                              // 000000004618: 245C5C81
	v_add_u32_e32 v47, v46, v47                                // 00000000461C: 685E5F2E
	v_lshlrev_b32_e32 v46, 2, v47                              // 000000004620: 245C5E82
	ds_read_b64 v[128:129], v46 offset:11776                   // 000000004624: D8EC2E00 8000002E
	ds_read_b64 v[130:131], v46 offset:12032                   // 00000000462C: D8EC2F00 8200002E
	ds_read_b64 v[132:133], v46 offset:12800                   // 000000004634: D8EC3200 8400002E
	ds_read_b64 v[134:135], v46 offset:13056                   // 00000000463C: D8EC3300 8600002E
	ds_read_b64 v[136:137], v46 offset:13824                   // 000000004644: D8EC3600 8800002E
	ds_read_b64 v[138:139], v46 offset:14080                   // 00000000464C: D8EC3700 8A00002E
	ds_read_b64 v[140:141], v46 offset:14848                   // 000000004654: D8EC3A00 8C00002E
	ds_read_b64 v[142:143], v46 offset:15104                   // 00000000465C: D8EC3B00 8E00002E
	s_waitcnt lgkmcnt(0)                                       // 000000004664: BF8CC07F
	s_barrier                                                  // 000000004668: BF8A0000
	v_mov_b32_e32 v160, 0                                      // 00000000466C: 7F400280
	v_mov_b32_e32 v176, 0                                      // 000000004670: 7F600280
	v_mov_b32_e32 v161, 0                                      // 000000004674: 7F420280
	v_mov_b32_e32 v177, 0                                      // 000000004678: 7F620280
	v_mov_b32_e32 v162, 0                                      // 00000000467C: 7F440280
	v_mov_b32_e32 v178, 0                                      // 000000004680: 7F640280
	v_mov_b32_e32 v163, 0                                      // 000000004684: 7F460280
	v_mov_b32_e32 v179, 0                                      // 000000004688: 7F660280
	v_mov_b32_e32 v164, 0                                      // 00000000468C: 7F480280
	v_mov_b32_e32 v180, 0                                      // 000000004690: 7F680280
	v_mov_b32_e32 v165, 0                                      // 000000004694: 7F4A0280
	v_mov_b32_e32 v181, 0                                      // 000000004698: 7F6A0280
	v_mov_b32_e32 v166, 0                                      // 00000000469C: 7F4C0280
	v_mov_b32_e32 v182, 0                                      // 0000000046A0: 7F6C0280
	v_mov_b32_e32 v167, 0                                      // 0000000046A4: 7F4E0280
	v_mov_b32_e32 v183, 0                                      // 0000000046A8: 7F6E0280
	v_mov_b32_e32 v168, 0                                      // 0000000046AC: 7F500280
	v_mov_b32_e32 v184, 0                                      // 0000000046B0: 7F700280
	v_mov_b32_e32 v169, 0                                      // 0000000046B4: 7F520280
	v_mov_b32_e32 v185, 0                                      // 0000000046B8: 7F720280
	v_mov_b32_e32 v170, 0                                      // 0000000046BC: 7F540280
	v_mov_b32_e32 v186, 0                                      // 0000000046C0: 7F740280
	v_mov_b32_e32 v171, 0                                      // 0000000046C4: 7F560280
	v_mov_b32_e32 v187, 0                                      // 0000000046C8: 7F760280
	v_mov_b32_e32 v172, 0                                      // 0000000046CC: 7F580280
	v_mov_b32_e32 v188, 0                                      // 0000000046D0: 7F780280
	v_mov_b32_e32 v173, 0                                      // 0000000046D4: 7F5A0280
	v_mov_b32_e32 v189, 0                                      // 0000000046D8: 7F7A0280
	v_mov_b32_e32 v174, 0                                      // 0000000046DC: 7F5C0280
	v_mov_b32_e32 v190, 0                                      // 0000000046E0: 7F7C0280
	v_mov_b32_e32 v175, 0                                      // 0000000046E4: 7F5E0280
	v_mov_b32_e32 v191, 0                                      // 0000000046E8: 7F7E0280
	ds_write_b64 v4, v[160:161] offset:11776                   // 0000000046EC: D89A2E00 0000A004
	ds_write_b64 v4, v[162:163] offset:13952                   // 0000000046F4: D89A3680 0000A204
	ds_write_b64 v4, v[164:165] offset:16128                   // 0000000046FC: D89A3F00 0000A404
	ds_write_b64 v4, v[166:167] offset:18304                   // 000000004704: D89A4780 0000A604
	s_mov_b32 s80, 0                                           // 00000000470C: BED00080

0000000000004710 <label_0644>:
	s_waitcnt vmcnt(29) lgkmcnt(0)                             // 000000004710: BF8C407D
	s_barrier                                                  // 000000004714: BF8A0000
	v_mfma_f32_16x16x128_f8f6f4 v[160:163], a[0:7], v[128:135], 0// 000000004718: D3AD00A0 0A030100
	ds_read_b32 v64, v5 offset:11776                           // 000000004720: D86C2E00 40000005
	ds_read_b32 v65, v5 offset:16128                           // 000000004728: D86C3F00 41000005
	ds_read_b32 v66, v5 offset:11784                           // 000000004730: D86C2E08 42000005
	ds_read_b32 v67, v5 offset:16136                           // 000000004738: D86C3F08 43000005
	ds_read_b32 v68, v5 offset:11808                           // 000000004740: D86C2E20 44000005
	ds_read_b32 v69, v5 offset:16160                           // 000000004748: D86C3F20 45000005
	ds_read_b32 v70, v5 offset:11816                           // 000000004750: D86C2E28 46000005
	ds_read_b32 v71, v5 offset:16168                           // 000000004758: D86C3F28 47000005
	v_mfma_f32_16x16x128_f8f6f4 v[164:167], a[8:15], v[128:135], 0// 000000004760: D3AD00A4 0A030108
	buffer_load_dword v21, v6, s[16:19], 0 offen               // 000000004768: E0501000 80041506
	buffer_load_dwordx4 a[128:131], v37, s[12:15], 0 offen     // 000000004770: E05C1000 80838025
	buffer_load_dwordx4 a[132:135], v37, s[12:15], 0 offen offset:1024// 000000004778: E05C1400 80838425
	buffer_load_dwordx4 a[136:139], v38, s[12:15], 0 offen     // 000000004780: E05C1000 80838826
	buffer_load_dwordx4 a[140:143], v38, s[12:15], 0 offen offset:1024// 000000004788: E05C1400 80838C26
	s_waitcnt vmcnt(29)                                        // 000000004790: BF8C4F7D
	v_mfma_f32_16x16x128_f8f6f4 v[168:171], a[16:23], v[128:135], 0// 000000004794: D3AD00A8 0A030110
	v_mfma_f32_16x16x128_f8f6f4 v[172:175], a[24:31], v[128:135], 0// 00000000479C: D3AD00AC 0A030118
	buffer_load_dwordx4 a[144:147], v39, s[12:15], 0 offen     // 0000000047A4: E05C1000 80839027
	buffer_load_dwordx4 a[148:151], v39, s[12:15], 0 offen offset:1024// 0000000047AC: E05C1400 80839427
	buffer_load_dwordx4 a[152:155], v40, s[12:15], 0 offen     // 0000000047B4: E05C1000 80839828
	buffer_load_dwordx4 a[156:159], v40, s[12:15], 0 offen offset:1024// 0000000047BC: E05C1400 80839C28
	s_add_u32 s12, s78, s12                                    // 0000000047C4: 800C0C4E
	s_addc_u32 s13, 0, s13                                     // 0000000047C8: 820D0D80
	v_mul_f32_dpp v46, v19, v28 row_newbcast:0 row_mask:0xf bank_mask:0xf// 0000000047CC: 0A5C38FA FF015013
	v_mov_b32_e32 v47, v46                                     // 0000000047D4: 7E5E032E
	v_pk_mul_f32 v[160:161], v[46:47], v[160:161]              // 0000000047D8: D3B140A0 1803412E
	v_pk_mul_f32 v[162:163], v[46:47], v[162:163]              // 0000000047E0: D3B140A2 1803452E
	v_pk_mul_f32 v[164:165], v[46:47], v[164:165]              // 0000000047E8: D3B140A4 1803492E
	v_pk_mul_f32 v[166:167], v[46:47], v[166:167]              // 0000000047F0: D3B140A6 18034D2E
	v_mul_f32_dpp v46, v19, v28 row_newbcast:1 row_mask:0xf bank_mask:0xf// 0000000047F8: 0A5C38FA FF015113
	v_mov_b32_e32 v47, v46                                     // 000000004800: 7E5E032E
	v_pk_mul_f32 v[168:169], v[46:47], v[168:169]              // 000000004804: D3B140A8 1803512E
	v_pk_mul_f32 v[170:171], v[46:47], v[170:171]              // 00000000480C: D3B140AA 1803552E
	v_pk_mul_f32 v[172:173], v[46:47], v[172:173]              // 000000004814: D3B140AC 1803592E
	v_pk_mul_f32 v[174:175], v[46:47], v[174:175]              // 00000000481C: D3B140AE 18035D2E
	s_waitcnt vmcnt(29)                                        // 000000004824: BF8C4F7D
	v_mfma_f32_16x16x128_f8f6f4 v[144:147], a[32:39], v[136:143], 0// 000000004828: D3AD0090 0A031120
	ds_write_b64 v4, v[176:177] offset:29184                   // 000000004830: D89A7200 0000B004
	ds_write_b64 v4, v[178:179] offset:31360                   // 000000004838: D89A7A80 0000B204
	ds_write_b64 v4, v[180:181] offset:33536                   // 000000004840: D89A8300 0000B404
	ds_write_b64 v4, v[182:183] offset:35712                   // 000000004848: D89A8B80 0000B604
	v_mfma_f32_16x16x128_f8f6f4 v[148:151], a[40:47], v[136:143], 0// 000000004850: D3AD0094 0A031128
	buffer_load_dwordx4 a[160:163], v37, s[12:15], 0 offen     // 000000004858: E05C1000 8083A025
	buffer_load_dwordx4 a[164:167], v37, s[12:15], 0 offen offset:1024// 000000004860: E05C1400 8083A425
	buffer_load_dwordx4 a[168:171], v38, s[12:15], 0 offen     // 000000004868: E05C1000 8083A826
	buffer_load_dwordx4 a[172:175], v38, s[12:15], 0 offen offset:1024// 000000004870: E05C1400 8083AC26
	s_waitcnt vmcnt(29)                                        // 000000004878: BF8C4F7D
	v_mfma_f32_16x16x128_f8f6f4 v[152:155], a[48:55], v[136:143], 0// 00000000487C: D3AD0098 0A031130
	v_mfma_f32_16x16x128_f8f6f4 v[156:159], a[56:63], v[136:143], 0// 000000004884: D3AD009C 0A031138
	buffer_load_dwordx4 a[176:179], v39, s[12:15], 0 offen     // 00000000488C: E05C1000 8083B027
	buffer_load_dwordx4 a[180:183], v39, s[12:15], 0 offen offset:1024// 000000004894: E05C1400 8083B427
	buffer_load_dwordx4 a[184:187], v40, s[12:15], 0 offen     // 00000000489C: E05C1000 8083B828
	buffer_load_dwordx4 a[188:191], v40, s[12:15], 0 offen offset:1024// 0000000048A4: E05C1400 8083BC28
	v_mul_f32_dpp v46, v19, v29 row_newbcast:2 row_mask:0xf bank_mask:0xf// 0000000048AC: 0A5C3AFA FF015213
	v_mov_b32_e32 v47, v46                                     // 0000000048B4: 7E5E032E
	v_pk_fma_f32 v[160:161], v[144:145], v[46:47], v[160:161]  // 0000000048B8: D3B040A0 1E825D90
	v_pk_fma_f32 v[162:163], v[146:147], v[46:47], v[162:163]  // 0000000048C0: D3B040A2 1E8A5D92
	v_pk_fma_f32 v[164:165], v[148:149], v[46:47], v[164:165]  // 0000000048C8: D3B040A4 1E925D94
	v_pk_fma_f32 v[166:167], v[150:151], v[46:47], v[166:167]  // 0000000048D0: D3B040A6 1E9A5D96
	v_mul_f32_dpp v46, v19, v29 row_newbcast:3 row_mask:0xf bank_mask:0xf// 0000000048D8: 0A5C3AFA FF015313
	v_mov_b32_e32 v47, v46                                     // 0000000048E0: 7E5E032E
	v_pk_fma_f32 v[168:169], v[152:153], v[46:47], v[168:169]  // 0000000048E4: D3B040A8 1EA25D98
	v_pk_fma_f32 v[170:171], v[154:155], v[46:47], v[170:171]  // 0000000048EC: D3B040AA 1EAA5D9A
	v_pk_fma_f32 v[172:173], v[156:157], v[46:47], v[172:173]  // 0000000048F4: D3B040AC 1EB25D9C
	v_pk_fma_f32 v[174:175], v[158:159], v[46:47], v[174:175]  // 0000000048FC: D3B040AE 1EBA5D9E
	s_add_u32 s60, 0x300, s80                                  // 000000004904: 803C50FF 00000300
	s_cmp_lt_u32 s60, s81                                      // 00000000490C: BF0A513C
	s_cselect_b32 s56, s56, 0                                  // 000000004910: 85388038
	s_cselect_b32 s78, s78, 0                                  // 000000004914: 854E804E
	s_cselect_b32 s79, s79, 0                                  // 000000004918: 854F804F
	s_add_u32 s12, s56, s12                                    // 00000000491C: 800C0C38
	s_addc_u32 s13, 0, s13                                     // 000000004920: 820D0D80
	s_add_u32 s16, s79, s16                                    // 000000004924: 8010104F
	s_addc_u32 s17, 0, s17                                     // 000000004928: 82111180
	v_mov_b32_e32 v46, v23                                     // 00000000492C: 7E5C0317
	v_mov_b32_e32 v47, v23                                     // 000000004930: 7E5E0317
	v_pk_mul_f32 v[160:161], v[46:47], v[160:161]              // 000000004934: D3B140A0 1803412E
	v_pk_mul_f32 v[162:163], v[46:47], v[162:163]              // 00000000493C: D3B140A2 1803452E
	v_pk_mul_f32 v[164:165], v[46:47], v[164:165]              // 000000004944: D3B140A4 1803492E
	v_pk_mul_f32 v[166:167], v[46:47], v[166:167]              // 00000000494C: D3B140A6 18034D2E
	v_pk_mul_f32 v[168:169], v[46:47], v[168:169]              // 000000004954: D3B140A8 1803512E
	v_pk_mul_f32 v[170:171], v[46:47], v[170:171]              // 00000000495C: D3B140AA 1803552E
	v_pk_mul_f32 v[172:173], v[46:47], v[172:173]              // 000000004964: D3B140AC 1803592E
	v_pk_mul_f32 v[174:175], v[46:47], v[174:175]              // 00000000496C: D3B140AE 18035D2E
	v_cvt_pk_bf16_f32 v160, v160, v161                         // 000000004974: D26800A0 000343A0
	v_cvt_pk_bf16_f32 v161, v162, v163                         // 00000000497C: D26800A1 000347A2
	v_cvt_pk_bf16_f32 v162, v164, v165                         // 000000004984: D26800A2 00034BA4
	v_cvt_pk_bf16_f32 v163, v166, v167                         // 00000000498C: D26800A3 00034FA6
	v_cvt_pk_bf16_f32 v164, v168, v169                         // 000000004994: D26800A4 000353A8
	v_cvt_pk_bf16_f32 v165, v170, v171                         // 00000000499C: D26800A5 000357AA
	v_cvt_pk_bf16_f32 v166, v172, v173                         // 0000000049A4: D26800A6 00035BAC
	v_cvt_pk_bf16_f32 v167, v174, v175                         // 0000000049AC: D26800A7 00035FAE
	s_cmp_ge_u32 s80, 0x200                                    // 0000000049B4: BF09FF50 00000200
	s_cselect_b32 s59, 0x200, s59                              // 0000000049BC: 853B3BFF 00000200
	s_waitcnt lgkmcnt(0)                                       // 0000000049C4: BF8CC07F
	s_barrier                                                  // 0000000049C8: BF8A0000
	s_setvskip s20, 0                                          // 0000000049CC: BF108014
	global_atomic_pk_add_bf16 v80, v64, s[8:9]                 // 0000000049D0: DD488000 00084050
	s_setvskip 0, 0                                            // 0000000049D8: BF108080
	s_setvskip s20, 0                                          // 0000000049DC: BF108014
	global_atomic_pk_add_bf16 v80, v65, s[8:9] offset:256      // 0000000049E0: DD488100 00084150
	s_setvskip 0, 0                                            // 0000000049E8: BF108080
	s_setvskip s20, 1                                          // 0000000049EC: BF108114
	global_atomic_pk_add_bf16 v82, v66, s[8:9]                 // 0000000049F0: DD488000 00084252
	s_setvskip 0, 0                                            // 0000000049F8: BF108080
	s_setvskip s20, 1                                          // 0000000049FC: BF108114
	global_atomic_pk_add_bf16 v82, v67, s[8:9] offset:256      // 000000004A00: DD488100 00084352
	s_setvskip 0, 0                                            // 000000004A08: BF108080
	s_setvskip s20, 2                                          // 000000004A0C: BF108214
	global_atomic_pk_add_bf16 v84, v68, s[8:9]                 // 000000004A10: DD488000 00084454
	s_setvskip 0, 0                                            // 000000004A18: BF108080
	s_setvskip s20, 2                                          // 000000004A1C: BF108214
	global_atomic_pk_add_bf16 v84, v69, s[8:9] offset:256      // 000000004A20: DD488100 00084554
	s_setvskip 0, 0                                            // 000000004A28: BF108080
	s_setvskip s20, 3                                          // 000000004A2C: BF108314
	global_atomic_pk_add_bf16 v86, v70, s[8:9]                 // 000000004A30: DD488000 00084656
	s_setvskip 0, 0                                            // 000000004A38: BF108080
	s_setvskip s20, 3                                          // 000000004A3C: BF108314
	global_atomic_pk_add_bf16 v86, v71, s[8:9] offset:256      // 000000004A40: DD488100 00084756
	s_setvskip 0, 0                                            // 000000004A48: BF108080
	s_add_u32 s8, s59, s8                                      // 000000004A4C: 8008083B
	s_addc_u32 s9, 0, s9                                       // 000000004A50: 82090980
	s_addk_i32 s80, 0x100                                      // 000000004A54: B7500100
	s_cmp_lt_i32 s80, s81                                      // 000000004A58: BF045150
	s_cbranch_scc0 label_0B3D                                  // 000000004A5C: BF840425
	s_waitcnt vmcnt(29) lgkmcnt(0)                             // 000000004A60: BF8C407D
	s_barrier                                                  // 000000004A64: BF8A0000
	v_mfma_f32_16x16x128_f8f6f4 v[176:179], a[64:71], v[128:135], 0// 000000004A68: D3AD00B0 0A030140
	ds_read_b32 v64, v5 offset:29184                           // 000000004A70: D86C7200 40000005
	ds_read_b32 v65, v5 offset:33536                           // 000000004A78: D86C8300 41000005
	ds_read_b32 v66, v5 offset:29192                           // 000000004A80: D86C7208 42000005
	ds_read_b32 v67, v5 offset:33544                           // 000000004A88: D86C8308 43000005
	ds_read_b32 v68, v5 offset:29216                           // 000000004A90: D86C7220 44000005
	ds_read_b32 v69, v5 offset:33568                           // 000000004A98: D86C8320 45000005
	ds_read_b32 v70, v5 offset:29224                           // 000000004AA0: D86C7228 46000005
	ds_read_b32 v71, v5 offset:33576                           // 000000004AA8: D86C8328 47000005
	v_mfma_f32_16x16x128_f8f6f4 v[180:183], a[72:79], v[128:135], 0// 000000004AB0: D3AD00B4 0A030148
	buffer_load_dword v19, v6, s[16:19], 0 offen               // 000000004AB8: E0501000 80041306
	buffer_load_dwordx4 a[0:3], v37, s[12:15], 0 offen         // 000000004AC0: E05C1000 80830025
	buffer_load_dwordx4 a[4:7], v37, s[12:15], 0 offen offset:1024// 000000004AC8: E05C1400 80830425
	buffer_load_dwordx4 a[8:11], v38, s[12:15], 0 offen        // 000000004AD0: E05C1000 80830826
	buffer_load_dwordx4 a[12:15], v38, s[12:15], 0 offen offset:1024// 000000004AD8: E05C1400 80830C26
	s_waitcnt vmcnt(29)                                        // 000000004AE0: BF8C4F7D
	v_mfma_f32_16x16x128_f8f6f4 v[184:187], a[80:87], v[128:135], 0// 000000004AE4: D3AD00B8 0A030150
	v_mfma_f32_16x16x128_f8f6f4 v[188:191], a[88:95], v[128:135], 0// 000000004AEC: D3AD00BC 0A030158
	buffer_load_dwordx4 a[16:19], v39, s[12:15], 0 offen       // 000000004AF4: E05C1000 80831027
	buffer_load_dwordx4 a[20:23], v39, s[12:15], 0 offen offset:1024// 000000004AFC: E05C1400 80831427
	buffer_load_dwordx4 a[24:27], v40, s[12:15], 0 offen       // 000000004B04: E05C1000 80831828
	buffer_load_dwordx4 a[28:31], v40, s[12:15], 0 offen offset:1024// 000000004B0C: E05C1400 80831C28
	s_add_u32 s12, s78, s12                                    // 000000004B14: 800C0C4E
	s_addc_u32 s13, 0, s13                                     // 000000004B18: 820D0D80
	v_mul_f32_dpp v46, v20, v28 row_newbcast:0 row_mask:0xf bank_mask:0xf// 000000004B1C: 0A5C38FA FF015014
	v_mov_b32_e32 v47, v46                                     // 000000004B24: 7E5E032E
	v_pk_mul_f32 v[176:177], v[46:47], v[176:177]              // 000000004B28: D3B140B0 1803612E
	v_pk_mul_f32 v[178:179], v[46:47], v[178:179]              // 000000004B30: D3B140B2 1803652E
	v_pk_mul_f32 v[180:181], v[46:47], v[180:181]              // 000000004B38: D3B140B4 1803692E
	v_pk_mul_f32 v[182:183], v[46:47], v[182:183]              // 000000004B40: D3B140B6 18036D2E
	v_mul_f32_dpp v46, v20, v28 row_newbcast:1 row_mask:0xf bank_mask:0xf// 000000004B48: 0A5C38FA FF015114
	v_mov_b32_e32 v47, v46                                     // 000000004B50: 7E5E032E
	v_pk_mul_f32 v[184:185], v[46:47], v[184:185]              // 000000004B54: D3B140B8 1803712E
	v_pk_mul_f32 v[186:187], v[46:47], v[186:187]              // 000000004B5C: D3B140BA 1803752E
	v_pk_mul_f32 v[188:189], v[46:47], v[188:189]              // 000000004B64: D3B140BC 1803792E
	v_pk_mul_f32 v[190:191], v[46:47], v[190:191]              // 000000004B6C: D3B140BE 18037D2E
	s_waitcnt vmcnt(29)                                        // 000000004B74: BF8C4F7D
	v_mfma_f32_16x16x128_f8f6f4 v[144:147], a[96:103], v[136:143], 0// 000000004B78: D3AD0090 0A031160
	ds_write_b64 v4, v[160:161] offset:11776                   // 000000004B80: D89A2E00 0000A004
	ds_write_b64 v4, v[162:163] offset:13952                   // 000000004B88: D89A3680 0000A204
	ds_write_b64 v4, v[164:165] offset:16128                   // 000000004B90: D89A3F00 0000A404
	ds_write_b64 v4, v[166:167] offset:18304                   // 000000004B98: D89A4780 0000A604
	v_mfma_f32_16x16x128_f8f6f4 v[148:151], a[104:111], v[136:143], 0// 000000004BA0: D3AD0094 0A031168
	buffer_load_dwordx4 a[32:35], v37, s[12:15], 0 offen       // 000000004BA8: E05C1000 80832025
	buffer_load_dwordx4 a[36:39], v37, s[12:15], 0 offen offset:1024// 000000004BB0: E05C1400 80832425
	buffer_load_dwordx4 a[40:43], v38, s[12:15], 0 offen       // 000000004BB8: E05C1000 80832826
	buffer_load_dwordx4 a[44:47], v38, s[12:15], 0 offen offset:1024// 000000004BC0: E05C1400 80832C26
	s_waitcnt vmcnt(29)                                        // 000000004BC8: BF8C4F7D
	v_mfma_f32_16x16x128_f8f6f4 v[152:155], a[112:119], v[136:143], 0// 000000004BCC: D3AD0098 0A031170
	v_mfma_f32_16x16x128_f8f6f4 v[156:159], a[120:127], v[136:143], 0// 000000004BD4: D3AD009C 0A031178
	buffer_load_dwordx4 a[48:51], v39, s[12:15], 0 offen       // 000000004BDC: E05C1000 80833027
	buffer_load_dwordx4 a[52:55], v39, s[12:15], 0 offen offset:1024// 000000004BE4: E05C1400 80833427
	buffer_load_dwordx4 a[56:59], v40, s[12:15], 0 offen       // 000000004BEC: E05C1000 80833828
	buffer_load_dwordx4 a[60:63], v40, s[12:15], 0 offen offset:1024// 000000004BF4: E05C1400 80833C28
	v_mul_f32_dpp v46, v20, v29 row_newbcast:2 row_mask:0xf bank_mask:0xf// 000000004BFC: 0A5C3AFA FF015214
	v_mov_b32_e32 v47, v46                                     // 000000004C04: 7E5E032E
	v_pk_fma_f32 v[176:177], v[144:145], v[46:47], v[176:177]  // 000000004C08: D3B040B0 1EC25D90
	v_pk_fma_f32 v[178:179], v[146:147], v[46:47], v[178:179]  // 000000004C10: D3B040B2 1ECA5D92
	v_pk_fma_f32 v[180:181], v[148:149], v[46:47], v[180:181]  // 000000004C18: D3B040B4 1ED25D94
	v_pk_fma_f32 v[182:183], v[150:151], v[46:47], v[182:183]  // 000000004C20: D3B040B6 1EDA5D96
	v_mul_f32_dpp v46, v20, v29 row_newbcast:3 row_mask:0xf bank_mask:0xf// 000000004C28: 0A5C3AFA FF015314
	v_mov_b32_e32 v47, v46                                     // 000000004C30: 7E5E032E
	v_pk_fma_f32 v[184:185], v[152:153], v[46:47], v[184:185]  // 000000004C34: D3B040B8 1EE25D98
	v_pk_fma_f32 v[186:187], v[154:155], v[46:47], v[186:187]  // 000000004C3C: D3B040BA 1EEA5D9A
	v_pk_fma_f32 v[188:189], v[156:157], v[46:47], v[188:189]  // 000000004C44: D3B040BC 1EF25D9C
	v_pk_fma_f32 v[190:191], v[158:159], v[46:47], v[190:191]  // 000000004C4C: D3B040BE 1EFA5D9E
	s_add_u32 s60, 0x300, s80                                  // 000000004C54: 803C50FF 00000300
	s_cmp_lt_u32 s60, s81                                      // 000000004C5C: BF0A513C
	s_cselect_b32 s56, s56, 0                                  // 000000004C60: 85388038
	s_cselect_b32 s78, s78, 0                                  // 000000004C64: 854E804E
	s_cselect_b32 s79, s79, 0                                  // 000000004C68: 854F804F
	s_add_u32 s12, s56, s12                                    // 000000004C6C: 800C0C38
	s_addc_u32 s13, 0, s13                                     // 000000004C70: 820D0D80
	s_add_u32 s16, s79, s16                                    // 000000004C74: 8010104F
	s_addc_u32 s17, 0, s17                                     // 000000004C78: 82111180
	v_mov_b32_e32 v46, v23                                     // 000000004C7C: 7E5C0317
	v_mov_b32_e32 v47, v23                                     // 000000004C80: 7E5E0317
	v_pk_mul_f32 v[176:177], v[46:47], v[176:177]              // 000000004C84: D3B140B0 1803612E
	v_pk_mul_f32 v[178:179], v[46:47], v[178:179]              // 000000004C8C: D3B140B2 1803652E
	v_pk_mul_f32 v[180:181], v[46:47], v[180:181]              // 000000004C94: D3B140B4 1803692E
	v_pk_mul_f32 v[182:183], v[46:47], v[182:183]              // 000000004C9C: D3B140B6 18036D2E
	v_pk_mul_f32 v[184:185], v[46:47], v[184:185]              // 000000004CA4: D3B140B8 1803712E
	v_pk_mul_f32 v[186:187], v[46:47], v[186:187]              // 000000004CAC: D3B140BA 1803752E
	v_pk_mul_f32 v[188:189], v[46:47], v[188:189]              // 000000004CB4: D3B140BC 1803792E
	v_pk_mul_f32 v[190:191], v[46:47], v[190:191]              // 000000004CBC: D3B140BE 18037D2E
	v_cvt_pk_bf16_f32 v176, v176, v177                         // 000000004CC4: D26800B0 000363B0
	v_cvt_pk_bf16_f32 v177, v178, v179                         // 000000004CCC: D26800B1 000367B2
	v_cvt_pk_bf16_f32 v178, v180, v181                         // 000000004CD4: D26800B2 00036BB4
	v_cvt_pk_bf16_f32 v179, v182, v183                         // 000000004CDC: D26800B3 00036FB6
	v_cvt_pk_bf16_f32 v180, v184, v185                         // 000000004CE4: D26800B4 000373B8
	v_cvt_pk_bf16_f32 v181, v186, v187                         // 000000004CEC: D26800B5 000377BA
	v_cvt_pk_bf16_f32 v182, v188, v189                         // 000000004CF4: D26800B6 00037BBC
	v_cvt_pk_bf16_f32 v183, v190, v191                         // 000000004CFC: D26800B7 00037FBE
	s_cmp_ge_u32 s80, 0x200                                    // 000000004D04: BF09FF50 00000200
	s_cselect_b32 s59, 0x200, s59                              // 000000004D0C: 853B3BFF 00000200
	s_waitcnt lgkmcnt(0)                                       // 000000004D14: BF8CC07F
	s_barrier                                                  // 000000004D18: BF8A0000
	s_setvskip s20, 0                                          // 000000004D1C: BF108014
	global_atomic_pk_add_bf16 v80, v64, s[8:9]                 // 000000004D20: DD488000 00084050
	s_setvskip 0, 0                                            // 000000004D28: BF108080
	s_setvskip s20, 0                                          // 000000004D2C: BF108014
	global_atomic_pk_add_bf16 v80, v65, s[8:9] offset:256      // 000000004D30: DD488100 00084150
	s_setvskip 0, 0                                            // 000000004D38: BF108080
	s_setvskip s20, 1                                          // 000000004D3C: BF108114
	global_atomic_pk_add_bf16 v82, v66, s[8:9]                 // 000000004D40: DD488000 00084252
	s_setvskip 0, 0                                            // 000000004D48: BF108080
	s_setvskip s20, 1                                          // 000000004D4C: BF108114
	global_atomic_pk_add_bf16 v82, v67, s[8:9] offset:256      // 000000004D50: DD488100 00084352
	s_setvskip 0, 0                                            // 000000004D58: BF108080
	s_setvskip s20, 2                                          // 000000004D5C: BF108214
	global_atomic_pk_add_bf16 v84, v68, s[8:9]                 // 000000004D60: DD488000 00084454
	s_setvskip 0, 0                                            // 000000004D68: BF108080
	s_setvskip s20, 2                                          // 000000004D6C: BF108214
	global_atomic_pk_add_bf16 v84, v69, s[8:9] offset:256      // 000000004D70: DD488100 00084554
	s_setvskip 0, 0                                            // 000000004D78: BF108080
	s_setvskip s20, 3                                          // 000000004D7C: BF108314
	global_atomic_pk_add_bf16 v86, v70, s[8:9]                 // 000000004D80: DD488000 00084656
	s_setvskip 0, 0                                            // 000000004D88: BF108080
	s_setvskip s20, 3                                          // 000000004D8C: BF108314
	global_atomic_pk_add_bf16 v86, v71, s[8:9] offset:256      // 000000004D90: DD488100 00084756
	s_setvskip 0, 0                                            // 000000004D98: BF108080
	s_add_u32 s8, s59, s8                                      // 000000004D9C: 8008083B
	s_addc_u32 s9, 0, s9                                       // 000000004DA0: 82090980
	s_addk_i32 s80, 0x100                                      // 000000004DA4: B7500100
	s_cmp_lt_i32 s80, s81                                      // 000000004DA8: BF045150
	s_cbranch_scc0 label_0B3D                                  // 000000004DAC: BF840351
	s_waitcnt vmcnt(29) lgkmcnt(0)                             // 000000004DB0: BF8C407D
	s_barrier                                                  // 000000004DB4: BF8A0000
	v_mfma_f32_16x16x128_f8f6f4 v[160:163], a[128:135], v[128:135], 0// 000000004DB8: D3AD00A0 0A030180
	ds_read_b32 v64, v5 offset:11776                           // 000000004DC0: D86C2E00 40000005
	ds_read_b32 v65, v5 offset:16128                           // 000000004DC8: D86C3F00 41000005
	ds_read_b32 v66, v5 offset:11784                           // 000000004DD0: D86C2E08 42000005
	ds_read_b32 v67, v5 offset:16136                           // 000000004DD8: D86C3F08 43000005
	ds_read_b32 v68, v5 offset:11808                           // 000000004DE0: D86C2E20 44000005
	ds_read_b32 v69, v5 offset:16160                           // 000000004DE8: D86C3F20 45000005
	ds_read_b32 v70, v5 offset:11816                           // 000000004DF0: D86C2E28 46000005
	ds_read_b32 v71, v5 offset:16168                           // 000000004DF8: D86C3F28 47000005
	v_mfma_f32_16x16x128_f8f6f4 v[164:167], a[136:143], v[128:135], 0// 000000004E00: D3AD00A4 0A030188
	buffer_load_dword v20, v6, s[16:19], 0 offen               // 000000004E08: E0501000 80041406
	buffer_load_dwordx4 a[64:67], v37, s[12:15], 0 offen       // 000000004E10: E05C1000 80834025
	buffer_load_dwordx4 a[68:71], v37, s[12:15], 0 offen offset:1024// 000000004E18: E05C1400 80834425
	buffer_load_dwordx4 a[72:75], v38, s[12:15], 0 offen       // 000000004E20: E05C1000 80834826
	buffer_load_dwordx4 a[76:79], v38, s[12:15], 0 offen offset:1024// 000000004E28: E05C1400 80834C26
	s_waitcnt vmcnt(29)                                        // 000000004E30: BF8C4F7D
	v_mfma_f32_16x16x128_f8f6f4 v[168:171], a[144:151], v[128:135], 0// 000000004E34: D3AD00A8 0A030190
	v_mfma_f32_16x16x128_f8f6f4 v[172:175], a[152:159], v[128:135], 0// 000000004E3C: D3AD00AC 0A030198
	buffer_load_dwordx4 a[80:83], v39, s[12:15], 0 offen       // 000000004E44: E05C1000 80835027
	buffer_load_dwordx4 a[84:87], v39, s[12:15], 0 offen offset:1024// 000000004E4C: E05C1400 80835427
	buffer_load_dwordx4 a[88:91], v40, s[12:15], 0 offen       // 000000004E54: E05C1000 80835828
	buffer_load_dwordx4 a[92:95], v40, s[12:15], 0 offen offset:1024// 000000004E5C: E05C1400 80835C28
	s_add_u32 s12, s78, s12                                    // 000000004E64: 800C0C4E
	s_addc_u32 s13, 0, s13                                     // 000000004E68: 820D0D80
	v_mul_f32_dpp v46, v21, v28 row_newbcast:0 row_mask:0xf bank_mask:0xf// 000000004E6C: 0A5C38FA FF015015
	v_mov_b32_e32 v47, v46                                     // 000000004E74: 7E5E032E
	v_pk_mul_f32 v[160:161], v[46:47], v[160:161]              // 000000004E78: D3B140A0 1803412E
	v_pk_mul_f32 v[162:163], v[46:47], v[162:163]              // 000000004E80: D3B140A2 1803452E
	v_pk_mul_f32 v[164:165], v[46:47], v[164:165]              // 000000004E88: D3B140A4 1803492E
	v_pk_mul_f32 v[166:167], v[46:47], v[166:167]              // 000000004E90: D3B140A6 18034D2E
	v_mul_f32_dpp v46, v21, v28 row_newbcast:1 row_mask:0xf bank_mask:0xf// 000000004E98: 0A5C38FA FF015115
	v_mov_b32_e32 v47, v46                                     // 000000004EA0: 7E5E032E
	v_pk_mul_f32 v[168:169], v[46:47], v[168:169]              // 000000004EA4: D3B140A8 1803512E
	v_pk_mul_f32 v[170:171], v[46:47], v[170:171]              // 000000004EAC: D3B140AA 1803552E
	v_pk_mul_f32 v[172:173], v[46:47], v[172:173]              // 000000004EB4: D3B140AC 1803592E
	v_pk_mul_f32 v[174:175], v[46:47], v[174:175]              // 000000004EBC: D3B140AE 18035D2E
	s_waitcnt vmcnt(29)                                        // 000000004EC4: BF8C4F7D
	v_mfma_f32_16x16x128_f8f6f4 v[144:147], a[160:167], v[136:143], 0// 000000004EC8: D3AD0090 0A0311A0
	ds_write_b64 v4, v[176:177] offset:29184                   // 000000004ED0: D89A7200 0000B004
	ds_write_b64 v4, v[178:179] offset:31360                   // 000000004ED8: D89A7A80 0000B204
	ds_write_b64 v4, v[180:181] offset:33536                   // 000000004EE0: D89A8300 0000B404
	ds_write_b64 v4, v[182:183] offset:35712                   // 000000004EE8: D89A8B80 0000B604
	v_mfma_f32_16x16x128_f8f6f4 v[148:151], a[168:175], v[136:143], 0// 000000004EF0: D3AD0094 0A0311A8
	buffer_load_dwordx4 a[96:99], v37, s[12:15], 0 offen       // 000000004EF8: E05C1000 80836025
	buffer_load_dwordx4 a[100:103], v37, s[12:15], 0 offen offset:1024// 000000004F00: E05C1400 80836425
	buffer_load_dwordx4 a[104:107], v38, s[12:15], 0 offen     // 000000004F08: E05C1000 80836826
	buffer_load_dwordx4 a[108:111], v38, s[12:15], 0 offen offset:1024// 000000004F10: E05C1400 80836C26
	s_waitcnt vmcnt(29)                                        // 000000004F18: BF8C4F7D
	v_mfma_f32_16x16x128_f8f6f4 v[152:155], a[176:183], v[136:143], 0// 000000004F1C: D3AD0098 0A0311B0
	v_mfma_f32_16x16x128_f8f6f4 v[156:159], a[184:191], v[136:143], 0// 000000004F24: D3AD009C 0A0311B8
	buffer_load_dwordx4 a[112:115], v39, s[12:15], 0 offen     // 000000004F2C: E05C1000 80837027
	buffer_load_dwordx4 a[116:119], v39, s[12:15], 0 offen offset:1024// 000000004F34: E05C1400 80837427
	buffer_load_dwordx4 a[120:123], v40, s[12:15], 0 offen     // 000000004F3C: E05C1000 80837828
	buffer_load_dwordx4 a[124:127], v40, s[12:15], 0 offen offset:1024// 000000004F44: E05C1400 80837C28
	v_mul_f32_dpp v46, v21, v29 row_newbcast:2 row_mask:0xf bank_mask:0xf// 000000004F4C: 0A5C3AFA FF015215
	v_mov_b32_e32 v47, v46                                     // 000000004F54: 7E5E032E
	v_pk_fma_f32 v[160:161], v[144:145], v[46:47], v[160:161]  // 000000004F58: D3B040A0 1E825D90
	v_pk_fma_f32 v[162:163], v[146:147], v[46:47], v[162:163]  // 000000004F60: D3B040A2 1E8A5D92
	v_pk_fma_f32 v[164:165], v[148:149], v[46:47], v[164:165]  // 000000004F68: D3B040A4 1E925D94
	v_pk_fma_f32 v[166:167], v[150:151], v[46:47], v[166:167]  // 000000004F70: D3B040A6 1E9A5D96
	v_mul_f32_dpp v46, v21, v29 row_newbcast:3 row_mask:0xf bank_mask:0xf// 000000004F78: 0A5C3AFA FF015315
	v_mov_b32_e32 v47, v46                                     // 000000004F80: 7E5E032E
	v_pk_fma_f32 v[168:169], v[152:153], v[46:47], v[168:169]  // 000000004F84: D3B040A8 1EA25D98
	v_pk_fma_f32 v[170:171], v[154:155], v[46:47], v[170:171]  // 000000004F8C: D3B040AA 1EAA5D9A
	v_pk_fma_f32 v[172:173], v[156:157], v[46:47], v[172:173]  // 000000004F94: D3B040AC 1EB25D9C
	v_pk_fma_f32 v[174:175], v[158:159], v[46:47], v[174:175]  // 000000004F9C: D3B040AE 1EBA5D9E
	s_add_u32 s60, 0x300, s80                                  // 000000004FA4: 803C50FF 00000300
	s_cmp_lt_u32 s60, s81                                      // 000000004FAC: BF0A513C
	s_cselect_b32 s56, s56, 0                                  // 000000004FB0: 85388038
	s_cselect_b32 s78, s78, 0                                  // 000000004FB4: 854E804E
	s_cselect_b32 s79, s79, 0                                  // 000000004FB8: 854F804F
	s_add_u32 s12, s56, s12                                    // 000000004FBC: 800C0C38
	s_addc_u32 s13, 0, s13                                     // 000000004FC0: 820D0D80
	s_add_u32 s16, s79, s16                                    // 000000004FC4: 8010104F
	s_addc_u32 s17, 0, s17                                     // 000000004FC8: 82111180
	v_mov_b32_e32 v46, v23                                     // 000000004FCC: 7E5C0317
	v_mov_b32_e32 v47, v23                                     // 000000004FD0: 7E5E0317
	v_pk_mul_f32 v[160:161], v[46:47], v[160:161]              // 000000004FD4: D3B140A0 1803412E
	v_pk_mul_f32 v[162:163], v[46:47], v[162:163]              // 000000004FDC: D3B140A2 1803452E
	v_pk_mul_f32 v[164:165], v[46:47], v[164:165]              // 000000004FE4: D3B140A4 1803492E
	v_pk_mul_f32 v[166:167], v[46:47], v[166:167]              // 000000004FEC: D3B140A6 18034D2E
	v_pk_mul_f32 v[168:169], v[46:47], v[168:169]              // 000000004FF4: D3B140A8 1803512E
	v_pk_mul_f32 v[170:171], v[46:47], v[170:171]              // 000000004FFC: D3B140AA 1803552E
	v_pk_mul_f32 v[172:173], v[46:47], v[172:173]              // 000000005004: D3B140AC 1803592E
	v_pk_mul_f32 v[174:175], v[46:47], v[174:175]              // 00000000500C: D3B140AE 18035D2E
	v_cvt_pk_bf16_f32 v160, v160, v161                         // 000000005014: D26800A0 000343A0
	v_cvt_pk_bf16_f32 v161, v162, v163                         // 00000000501C: D26800A1 000347A2
	v_cvt_pk_bf16_f32 v162, v164, v165                         // 000000005024: D26800A2 00034BA4
	v_cvt_pk_bf16_f32 v163, v166, v167                         // 00000000502C: D26800A3 00034FA6
	v_cvt_pk_bf16_f32 v164, v168, v169                         // 000000005034: D26800A4 000353A8
	v_cvt_pk_bf16_f32 v165, v170, v171                         // 00000000503C: D26800A5 000357AA
	v_cvt_pk_bf16_f32 v166, v172, v173                         // 000000005044: D26800A6 00035BAC
	v_cvt_pk_bf16_f32 v167, v174, v175                         // 00000000504C: D26800A7 00035FAE
	s_cmp_ge_u32 s80, 0x200                                    // 000000005054: BF09FF50 00000200
	s_cselect_b32 s59, 0x200, s59                              // 00000000505C: 853B3BFF 00000200
	s_waitcnt lgkmcnt(0)                                       // 000000005064: BF8CC07F
	s_barrier                                                  // 000000005068: BF8A0000
	s_setvskip s20, 0                                          // 00000000506C: BF108014
	global_atomic_pk_add_bf16 v80, v64, s[8:9]                 // 000000005070: DD488000 00084050
	s_setvskip 0, 0                                            // 000000005078: BF108080
	s_setvskip s20, 0                                          // 00000000507C: BF108014
	global_atomic_pk_add_bf16 v80, v65, s[8:9] offset:256      // 000000005080: DD488100 00084150
	s_setvskip 0, 0                                            // 000000005088: BF108080
	s_setvskip s20, 1                                          // 00000000508C: BF108114
	global_atomic_pk_add_bf16 v82, v66, s[8:9]                 // 000000005090: DD488000 00084252
	s_setvskip 0, 0                                            // 000000005098: BF108080
	s_setvskip s20, 1                                          // 00000000509C: BF108114
	global_atomic_pk_add_bf16 v82, v67, s[8:9] offset:256      // 0000000050A0: DD488100 00084352
	s_setvskip 0, 0                                            // 0000000050A8: BF108080
	s_setvskip s20, 2                                          // 0000000050AC: BF108214
	global_atomic_pk_add_bf16 v84, v68, s[8:9]                 // 0000000050B0: DD488000 00084454
	s_setvskip 0, 0                                            // 0000000050B8: BF108080
	s_setvskip s20, 2                                          // 0000000050BC: BF108214
	global_atomic_pk_add_bf16 v84, v69, s[8:9] offset:256      // 0000000050C0: DD488100 00084554
	s_setvskip 0, 0                                            // 0000000050C8: BF108080
	s_setvskip s20, 3                                          // 0000000050CC: BF108314
	global_atomic_pk_add_bf16 v86, v70, s[8:9]                 // 0000000050D0: DD488000 00084656
	s_setvskip 0, 0                                            // 0000000050D8: BF108080
	s_setvskip s20, 3                                          // 0000000050DC: BF108314
	global_atomic_pk_add_bf16 v86, v71, s[8:9] offset:256      // 0000000050E0: DD488100 00084756
	s_setvskip 0, 0                                            // 0000000050E8: BF108080
	s_add_u32 s8, s59, s8                                      // 0000000050EC: 8008083B
	s_addc_u32 s9, 0, s9                                       // 0000000050F0: 82090980
	s_addk_i32 s80, 0x100                                      // 0000000050F4: B7500100
	s_cmp_lt_i32 s80, s81                                      // 0000000050F8: BF045150
	s_cbranch_scc0 label_0B3D                                  // 0000000050FC: BF84027D
	s_waitcnt vmcnt(29) lgkmcnt(0)                             // 000000005100: BF8C407D
	s_barrier                                                  // 000000005104: BF8A0000
	v_mfma_f32_16x16x128_f8f6f4 v[176:179], a[0:7], v[128:135], 0// 000000005108: D3AD00B0 0A030100
	ds_read_b32 v64, v5 offset:29184                           // 000000005110: D86C7200 40000005
	ds_read_b32 v65, v5 offset:33536                           // 000000005118: D86C8300 41000005
	ds_read_b32 v66, v5 offset:29192                           // 000000005120: D86C7208 42000005
	ds_read_b32 v67, v5 offset:33544                           // 000000005128: D86C8308 43000005
	ds_read_b32 v68, v5 offset:29216                           // 000000005130: D86C7220 44000005
	ds_read_b32 v69, v5 offset:33568                           // 000000005138: D86C8320 45000005
	ds_read_b32 v70, v5 offset:29224                           // 000000005140: D86C7228 46000005
	ds_read_b32 v71, v5 offset:33576                           // 000000005148: D86C8328 47000005
	v_mfma_f32_16x16x128_f8f6f4 v[180:183], a[8:15], v[128:135], 0// 000000005150: D3AD00B4 0A030108
	buffer_load_dword v21, v6, s[16:19], 0 offen               // 000000005158: E0501000 80041506
	buffer_load_dwordx4 a[128:131], v37, s[12:15], 0 offen     // 000000005160: E05C1000 80838025
	buffer_load_dwordx4 a[132:135], v37, s[12:15], 0 offen offset:1024// 000000005168: E05C1400 80838425
	buffer_load_dwordx4 a[136:139], v38, s[12:15], 0 offen     // 000000005170: E05C1000 80838826
	buffer_load_dwordx4 a[140:143], v38, s[12:15], 0 offen offset:1024// 000000005178: E05C1400 80838C26
	s_waitcnt vmcnt(29)                                        // 000000005180: BF8C4F7D
	v_mfma_f32_16x16x128_f8f6f4 v[184:187], a[16:23], v[128:135], 0// 000000005184: D3AD00B8 0A030110
	v_mfma_f32_16x16x128_f8f6f4 v[188:191], a[24:31], v[128:135], 0// 00000000518C: D3AD00BC 0A030118
	buffer_load_dwordx4 a[144:147], v39, s[12:15], 0 offen     // 000000005194: E05C1000 80839027
	buffer_load_dwordx4 a[148:151], v39, s[12:15], 0 offen offset:1024// 00000000519C: E05C1400 80839427
	buffer_load_dwordx4 a[152:155], v40, s[12:15], 0 offen     // 0000000051A4: E05C1000 80839828
	buffer_load_dwordx4 a[156:159], v40, s[12:15], 0 offen offset:1024// 0000000051AC: E05C1400 80839C28
	s_add_u32 s12, s78, s12                                    // 0000000051B4: 800C0C4E
	s_addc_u32 s13, 0, s13                                     // 0000000051B8: 820D0D80
	v_mul_f32_dpp v46, v19, v28 row_newbcast:0 row_mask:0xf bank_mask:0xf// 0000000051BC: 0A5C38FA FF015013
	v_mov_b32_e32 v47, v46                                     // 0000000051C4: 7E5E032E
	v_pk_mul_f32 v[176:177], v[46:47], v[176:177]              // 0000000051C8: D3B140B0 1803612E
	v_pk_mul_f32 v[178:179], v[46:47], v[178:179]              // 0000000051D0: D3B140B2 1803652E
	v_pk_mul_f32 v[180:181], v[46:47], v[180:181]              // 0000000051D8: D3B140B4 1803692E
	v_pk_mul_f32 v[182:183], v[46:47], v[182:183]              // 0000000051E0: D3B140B6 18036D2E
	v_mul_f32_dpp v46, v19, v28 row_newbcast:1 row_mask:0xf bank_mask:0xf// 0000000051E8: 0A5C38FA FF015113
	v_mov_b32_e32 v47, v46                                     // 0000000051F0: 7E5E032E
	v_pk_mul_f32 v[184:185], v[46:47], v[184:185]              // 0000000051F4: D3B140B8 1803712E
	v_pk_mul_f32 v[186:187], v[46:47], v[186:187]              // 0000000051FC: D3B140BA 1803752E
	v_pk_mul_f32 v[188:189], v[46:47], v[188:189]              // 000000005204: D3B140BC 1803792E
	v_pk_mul_f32 v[190:191], v[46:47], v[190:191]              // 00000000520C: D3B140BE 18037D2E
	s_waitcnt vmcnt(29)                                        // 000000005214: BF8C4F7D
	v_mfma_f32_16x16x128_f8f6f4 v[144:147], a[32:39], v[136:143], 0// 000000005218: D3AD0090 0A031120
	ds_write_b64 v4, v[160:161] offset:11776                   // 000000005220: D89A2E00 0000A004
	ds_write_b64 v4, v[162:163] offset:13952                   // 000000005228: D89A3680 0000A204
	ds_write_b64 v4, v[164:165] offset:16128                   // 000000005230: D89A3F00 0000A404
	ds_write_b64 v4, v[166:167] offset:18304                   // 000000005238: D89A4780 0000A604
	v_mfma_f32_16x16x128_f8f6f4 v[148:151], a[40:47], v[136:143], 0// 000000005240: D3AD0094 0A031128
	buffer_load_dwordx4 a[160:163], v37, s[12:15], 0 offen     // 000000005248: E05C1000 8083A025
	buffer_load_dwordx4 a[164:167], v37, s[12:15], 0 offen offset:1024// 000000005250: E05C1400 8083A425
	buffer_load_dwordx4 a[168:171], v38, s[12:15], 0 offen     // 000000005258: E05C1000 8083A826
	buffer_load_dwordx4 a[172:175], v38, s[12:15], 0 offen offset:1024// 000000005260: E05C1400 8083AC26
	s_waitcnt vmcnt(29)                                        // 000000005268: BF8C4F7D
	v_mfma_f32_16x16x128_f8f6f4 v[152:155], a[48:55], v[136:143], 0// 00000000526C: D3AD0098 0A031130
	v_mfma_f32_16x16x128_f8f6f4 v[156:159], a[56:63], v[136:143], 0// 000000005274: D3AD009C 0A031138
	buffer_load_dwordx4 a[176:179], v39, s[12:15], 0 offen     // 00000000527C: E05C1000 8083B027
	buffer_load_dwordx4 a[180:183], v39, s[12:15], 0 offen offset:1024// 000000005284: E05C1400 8083B427
	buffer_load_dwordx4 a[184:187], v40, s[12:15], 0 offen     // 00000000528C: E05C1000 8083B828
	buffer_load_dwordx4 a[188:191], v40, s[12:15], 0 offen offset:1024// 000000005294: E05C1400 8083BC28
	v_mul_f32_dpp v46, v19, v29 row_newbcast:2 row_mask:0xf bank_mask:0xf// 00000000529C: 0A5C3AFA FF015213
	v_mov_b32_e32 v47, v46                                     // 0000000052A4: 7E5E032E
	v_pk_fma_f32 v[176:177], v[144:145], v[46:47], v[176:177]  // 0000000052A8: D3B040B0 1EC25D90
	v_pk_fma_f32 v[178:179], v[146:147], v[46:47], v[178:179]  // 0000000052B0: D3B040B2 1ECA5D92
	v_pk_fma_f32 v[180:181], v[148:149], v[46:47], v[180:181]  // 0000000052B8: D3B040B4 1ED25D94
	v_pk_fma_f32 v[182:183], v[150:151], v[46:47], v[182:183]  // 0000000052C0: D3B040B6 1EDA5D96
	v_mul_f32_dpp v46, v19, v29 row_newbcast:3 row_mask:0xf bank_mask:0xf// 0000000052C8: 0A5C3AFA FF015313
	v_mov_b32_e32 v47, v46                                     // 0000000052D0: 7E5E032E
	v_pk_fma_f32 v[184:185], v[152:153], v[46:47], v[184:185]  // 0000000052D4: D3B040B8 1EE25D98
	v_pk_fma_f32 v[186:187], v[154:155], v[46:47], v[186:187]  // 0000000052DC: D3B040BA 1EEA5D9A
	v_pk_fma_f32 v[188:189], v[156:157], v[46:47], v[188:189]  // 0000000052E4: D3B040BC 1EF25D9C
	v_pk_fma_f32 v[190:191], v[158:159], v[46:47], v[190:191]  // 0000000052EC: D3B040BE 1EFA5D9E
	s_add_u32 s60, 0x300, s80                                  // 0000000052F4: 803C50FF 00000300
	s_cmp_lt_u32 s60, s81                                      // 0000000052FC: BF0A513C
	s_cselect_b32 s56, s56, 0                                  // 000000005300: 85388038
	s_cselect_b32 s78, s78, 0                                  // 000000005304: 854E804E
	s_cselect_b32 s79, s79, 0                                  // 000000005308: 854F804F
	s_add_u32 s12, s56, s12                                    // 00000000530C: 800C0C38
	s_addc_u32 s13, 0, s13                                     // 000000005310: 820D0D80
	s_add_u32 s16, s79, s16                                    // 000000005314: 8010104F
	s_addc_u32 s17, 0, s17                                     // 000000005318: 82111180
	v_mov_b32_e32 v46, v23                                     // 00000000531C: 7E5C0317
	v_mov_b32_e32 v47, v23                                     // 000000005320: 7E5E0317
	v_pk_mul_f32 v[176:177], v[46:47], v[176:177]              // 000000005324: D3B140B0 1803612E
	v_pk_mul_f32 v[178:179], v[46:47], v[178:179]              // 00000000532C: D3B140B2 1803652E
	v_pk_mul_f32 v[180:181], v[46:47], v[180:181]              // 000000005334: D3B140B4 1803692E
	v_pk_mul_f32 v[182:183], v[46:47], v[182:183]              // 00000000533C: D3B140B6 18036D2E
	v_pk_mul_f32 v[184:185], v[46:47], v[184:185]              // 000000005344: D3B140B8 1803712E
	v_pk_mul_f32 v[186:187], v[46:47], v[186:187]              // 00000000534C: D3B140BA 1803752E
	v_pk_mul_f32 v[188:189], v[46:47], v[188:189]              // 000000005354: D3B140BC 1803792E
	v_pk_mul_f32 v[190:191], v[46:47], v[190:191]              // 00000000535C: D3B140BE 18037D2E
	v_cvt_pk_bf16_f32 v176, v176, v177                         // 000000005364: D26800B0 000363B0
	v_cvt_pk_bf16_f32 v177, v178, v179                         // 00000000536C: D26800B1 000367B2
	v_cvt_pk_bf16_f32 v178, v180, v181                         // 000000005374: D26800B2 00036BB4
	v_cvt_pk_bf16_f32 v179, v182, v183                         // 00000000537C: D26800B3 00036FB6
	v_cvt_pk_bf16_f32 v180, v184, v185                         // 000000005384: D26800B4 000373B8
	v_cvt_pk_bf16_f32 v181, v186, v187                         // 00000000538C: D26800B5 000377BA
	v_cvt_pk_bf16_f32 v182, v188, v189                         // 000000005394: D26800B6 00037BBC
	v_cvt_pk_bf16_f32 v183, v190, v191                         // 00000000539C: D26800B7 00037FBE
	s_cmp_ge_u32 s80, 0x200                                    // 0000000053A4: BF09FF50 00000200
	s_cselect_b32 s59, 0x200, s59                              // 0000000053AC: 853B3BFF 00000200
	s_waitcnt lgkmcnt(0)                                       // 0000000053B4: BF8CC07F
	s_barrier                                                  // 0000000053B8: BF8A0000
	s_setvskip s20, 0                                          // 0000000053BC: BF108014
	global_atomic_pk_add_bf16 v80, v64, s[8:9]                 // 0000000053C0: DD488000 00084050
	s_setvskip 0, 0                                            // 0000000053C8: BF108080
	s_setvskip s20, 0                                          // 0000000053CC: BF108014
	global_atomic_pk_add_bf16 v80, v65, s[8:9] offset:256      // 0000000053D0: DD488100 00084150
	s_setvskip 0, 0                                            // 0000000053D8: BF108080
	s_setvskip s20, 1                                          // 0000000053DC: BF108114
	global_atomic_pk_add_bf16 v82, v66, s[8:9]                 // 0000000053E0: DD488000 00084252
	s_setvskip 0, 0                                            // 0000000053E8: BF108080
	s_setvskip s20, 1                                          // 0000000053EC: BF108114
	global_atomic_pk_add_bf16 v82, v67, s[8:9] offset:256      // 0000000053F0: DD488100 00084352
	s_setvskip 0, 0                                            // 0000000053F8: BF108080
	s_setvskip s20, 2                                          // 0000000053FC: BF108214
	global_atomic_pk_add_bf16 v84, v68, s[8:9]                 // 000000005400: DD488000 00084454
	s_setvskip 0, 0                                            // 000000005408: BF108080
	s_setvskip s20, 2                                          // 00000000540C: BF108214
	global_atomic_pk_add_bf16 v84, v69, s[8:9] offset:256      // 000000005410: DD488100 00084554
	s_setvskip 0, 0                                            // 000000005418: BF108080
	s_setvskip s20, 3                                          // 00000000541C: BF108314
	global_atomic_pk_add_bf16 v86, v70, s[8:9]                 // 000000005420: DD488000 00084656
	s_setvskip 0, 0                                            // 000000005428: BF108080
	s_setvskip s20, 3                                          // 00000000542C: BF108314
	global_atomic_pk_add_bf16 v86, v71, s[8:9] offset:256      // 000000005430: DD488100 00084756
	s_setvskip 0, 0                                            // 000000005438: BF108080
	s_add_u32 s8, s59, s8                                      // 00000000543C: 8008083B
	s_addc_u32 s9, 0, s9                                       // 000000005440: 82090980
	s_addk_i32 s80, 0x100                                      // 000000005444: B7500100
	s_cmp_lt_i32 s80, s81                                      // 000000005448: BF045150
	s_cbranch_scc0 label_0B3D                                  // 00000000544C: BF8401A9
	s_waitcnt vmcnt(29) lgkmcnt(0)                             // 000000005450: BF8C407D
	s_barrier                                                  // 000000005454: BF8A0000
	v_mfma_f32_16x16x128_f8f6f4 v[160:163], a[64:71], v[128:135], 0// 000000005458: D3AD00A0 0A030140
	ds_read_b32 v64, v5 offset:11776                           // 000000005460: D86C2E00 40000005
	ds_read_b32 v65, v5 offset:16128                           // 000000005468: D86C3F00 41000005
	ds_read_b32 v66, v5 offset:11784                           // 000000005470: D86C2E08 42000005
	ds_read_b32 v67, v5 offset:16136                           // 000000005478: D86C3F08 43000005
	ds_read_b32 v68, v5 offset:11808                           // 000000005480: D86C2E20 44000005
	ds_read_b32 v69, v5 offset:16160                           // 000000005488: D86C3F20 45000005
	ds_read_b32 v70, v5 offset:11816                           // 000000005490: D86C2E28 46000005
	ds_read_b32 v71, v5 offset:16168                           // 000000005498: D86C3F28 47000005
	v_mfma_f32_16x16x128_f8f6f4 v[164:167], a[72:79], v[128:135], 0// 0000000054A0: D3AD00A4 0A030148
	buffer_load_dword v19, v6, s[16:19], 0 offen               // 0000000054A8: E0501000 80041306
	buffer_load_dwordx4 a[0:3], v37, s[12:15], 0 offen         // 0000000054B0: E05C1000 80830025
	buffer_load_dwordx4 a[4:7], v37, s[12:15], 0 offen offset:1024// 0000000054B8: E05C1400 80830425
	buffer_load_dwordx4 a[8:11], v38, s[12:15], 0 offen        // 0000000054C0: E05C1000 80830826
	buffer_load_dwordx4 a[12:15], v38, s[12:15], 0 offen offset:1024// 0000000054C8: E05C1400 80830C26
	s_waitcnt vmcnt(29)                                        // 0000000054D0: BF8C4F7D
	v_mfma_f32_16x16x128_f8f6f4 v[168:171], a[80:87], v[128:135], 0// 0000000054D4: D3AD00A8 0A030150
	v_mfma_f32_16x16x128_f8f6f4 v[172:175], a[88:95], v[128:135], 0// 0000000054DC: D3AD00AC 0A030158
	buffer_load_dwordx4 a[16:19], v39, s[12:15], 0 offen       // 0000000054E4: E05C1000 80831027
	buffer_load_dwordx4 a[20:23], v39, s[12:15], 0 offen offset:1024// 0000000054EC: E05C1400 80831427
	buffer_load_dwordx4 a[24:27], v40, s[12:15], 0 offen       // 0000000054F4: E05C1000 80831828
	buffer_load_dwordx4 a[28:31], v40, s[12:15], 0 offen offset:1024// 0000000054FC: E05C1400 80831C28
	s_add_u32 s12, s78, s12                                    // 000000005504: 800C0C4E
	s_addc_u32 s13, 0, s13                                     // 000000005508: 820D0D80
	v_mul_f32_dpp v46, v20, v28 row_newbcast:0 row_mask:0xf bank_mask:0xf// 00000000550C: 0A5C38FA FF015014
	v_mov_b32_e32 v47, v46                                     // 000000005514: 7E5E032E
	v_pk_mul_f32 v[160:161], v[46:47], v[160:161]              // 000000005518: D3B140A0 1803412E
	v_pk_mul_f32 v[162:163], v[46:47], v[162:163]              // 000000005520: D3B140A2 1803452E
	v_pk_mul_f32 v[164:165], v[46:47], v[164:165]              // 000000005528: D3B140A4 1803492E
	v_pk_mul_f32 v[166:167], v[46:47], v[166:167]              // 000000005530: D3B140A6 18034D2E
	v_mul_f32_dpp v46, v20, v28 row_newbcast:1 row_mask:0xf bank_mask:0xf// 000000005538: 0A5C38FA FF015114
	v_mov_b32_e32 v47, v46                                     // 000000005540: 7E5E032E
	v_pk_mul_f32 v[168:169], v[46:47], v[168:169]              // 000000005544: D3B140A8 1803512E
	v_pk_mul_f32 v[170:171], v[46:47], v[170:171]              // 00000000554C: D3B140AA 1803552E
	v_pk_mul_f32 v[172:173], v[46:47], v[172:173]              // 000000005554: D3B140AC 1803592E
	v_pk_mul_f32 v[174:175], v[46:47], v[174:175]              // 00000000555C: D3B140AE 18035D2E
	s_waitcnt vmcnt(29)                                        // 000000005564: BF8C4F7D
	v_mfma_f32_16x16x128_f8f6f4 v[144:147], a[96:103], v[136:143], 0// 000000005568: D3AD0090 0A031160
	ds_write_b64 v4, v[176:177] offset:29184                   // 000000005570: D89A7200 0000B004
	ds_write_b64 v4, v[178:179] offset:31360                   // 000000005578: D89A7A80 0000B204
	ds_write_b64 v4, v[180:181] offset:33536                   // 000000005580: D89A8300 0000B404
	ds_write_b64 v4, v[182:183] offset:35712                   // 000000005588: D89A8B80 0000B604
	v_mfma_f32_16x16x128_f8f6f4 v[148:151], a[104:111], v[136:143], 0// 000000005590: D3AD0094 0A031168
	buffer_load_dwordx4 a[32:35], v37, s[12:15], 0 offen       // 000000005598: E05C1000 80832025
	buffer_load_dwordx4 a[36:39], v37, s[12:15], 0 offen offset:1024// 0000000055A0: E05C1400 80832425
	buffer_load_dwordx4 a[40:43], v38, s[12:15], 0 offen       // 0000000055A8: E05C1000 80832826
	buffer_load_dwordx4 a[44:47], v38, s[12:15], 0 offen offset:1024// 0000000055B0: E05C1400 80832C26
	s_waitcnt vmcnt(29)                                        // 0000000055B8: BF8C4F7D
	v_mfma_f32_16x16x128_f8f6f4 v[152:155], a[112:119], v[136:143], 0// 0000000055BC: D3AD0098 0A031170
	v_mfma_f32_16x16x128_f8f6f4 v[156:159], a[120:127], v[136:143], 0// 0000000055C4: D3AD009C 0A031178
	buffer_load_dwordx4 a[48:51], v39, s[12:15], 0 offen       // 0000000055CC: E05C1000 80833027
	buffer_load_dwordx4 a[52:55], v39, s[12:15], 0 offen offset:1024// 0000000055D4: E05C1400 80833427
	buffer_load_dwordx4 a[56:59], v40, s[12:15], 0 offen       // 0000000055DC: E05C1000 80833828
	buffer_load_dwordx4 a[60:63], v40, s[12:15], 0 offen offset:1024// 0000000055E4: E05C1400 80833C28
	v_mul_f32_dpp v46, v20, v29 row_newbcast:2 row_mask:0xf bank_mask:0xf// 0000000055EC: 0A5C3AFA FF015214
	v_mov_b32_e32 v47, v46                                     // 0000000055F4: 7E5E032E
	v_pk_fma_f32 v[160:161], v[144:145], v[46:47], v[160:161]  // 0000000055F8: D3B040A0 1E825D90
	v_pk_fma_f32 v[162:163], v[146:147], v[46:47], v[162:163]  // 000000005600: D3B040A2 1E8A5D92
	v_pk_fma_f32 v[164:165], v[148:149], v[46:47], v[164:165]  // 000000005608: D3B040A4 1E925D94
	v_pk_fma_f32 v[166:167], v[150:151], v[46:47], v[166:167]  // 000000005610: D3B040A6 1E9A5D96
	v_mul_f32_dpp v46, v20, v29 row_newbcast:3 row_mask:0xf bank_mask:0xf// 000000005618: 0A5C3AFA FF015314
	v_mov_b32_e32 v47, v46                                     // 000000005620: 7E5E032E
	v_pk_fma_f32 v[168:169], v[152:153], v[46:47], v[168:169]  // 000000005624: D3B040A8 1EA25D98
	v_pk_fma_f32 v[170:171], v[154:155], v[46:47], v[170:171]  // 00000000562C: D3B040AA 1EAA5D9A
	v_pk_fma_f32 v[172:173], v[156:157], v[46:47], v[172:173]  // 000000005634: D3B040AC 1EB25D9C
	v_pk_fma_f32 v[174:175], v[158:159], v[46:47], v[174:175]  // 00000000563C: D3B040AE 1EBA5D9E
	s_add_u32 s60, 0x300, s80                                  // 000000005644: 803C50FF 00000300
	s_cmp_lt_u32 s60, s81                                      // 00000000564C: BF0A513C
	s_cselect_b32 s56, s56, 0                                  // 000000005650: 85388038
	s_cselect_b32 s78, s78, 0                                  // 000000005654: 854E804E
	s_cselect_b32 s79, s79, 0                                  // 000000005658: 854F804F
	s_add_u32 s12, s56, s12                                    // 00000000565C: 800C0C38
	s_addc_u32 s13, 0, s13                                     // 000000005660: 820D0D80
	s_add_u32 s16, s79, s16                                    // 000000005664: 8010104F
	s_addc_u32 s17, 0, s17                                     // 000000005668: 82111180
	v_mov_b32_e32 v46, v23                                     // 00000000566C: 7E5C0317
	v_mov_b32_e32 v47, v23                                     // 000000005670: 7E5E0317
	v_pk_mul_f32 v[160:161], v[46:47], v[160:161]              // 000000005674: D3B140A0 1803412E
	v_pk_mul_f32 v[162:163], v[46:47], v[162:163]              // 00000000567C: D3B140A2 1803452E
	v_pk_mul_f32 v[164:165], v[46:47], v[164:165]              // 000000005684: D3B140A4 1803492E
	v_pk_mul_f32 v[166:167], v[46:47], v[166:167]              // 00000000568C: D3B140A6 18034D2E
	v_pk_mul_f32 v[168:169], v[46:47], v[168:169]              // 000000005694: D3B140A8 1803512E
	v_pk_mul_f32 v[170:171], v[46:47], v[170:171]              // 00000000569C: D3B140AA 1803552E
	v_pk_mul_f32 v[172:173], v[46:47], v[172:173]              // 0000000056A4: D3B140AC 1803592E
	v_pk_mul_f32 v[174:175], v[46:47], v[174:175]              // 0000000056AC: D3B140AE 18035D2E
	v_cvt_pk_bf16_f32 v160, v160, v161                         // 0000000056B4: D26800A0 000343A0
	v_cvt_pk_bf16_f32 v161, v162, v163                         // 0000000056BC: D26800A1 000347A2
	v_cvt_pk_bf16_f32 v162, v164, v165                         // 0000000056C4: D26800A2 00034BA4
	v_cvt_pk_bf16_f32 v163, v166, v167                         // 0000000056CC: D26800A3 00034FA6
	v_cvt_pk_bf16_f32 v164, v168, v169                         // 0000000056D4: D26800A4 000353A8
	v_cvt_pk_bf16_f32 v165, v170, v171                         // 0000000056DC: D26800A5 000357AA
	v_cvt_pk_bf16_f32 v166, v172, v173                         // 0000000056E4: D26800A6 00035BAC
	v_cvt_pk_bf16_f32 v167, v174, v175                         // 0000000056EC: D26800A7 00035FAE
	s_cmp_ge_u32 s80, 0x200                                    // 0000000056F4: BF09FF50 00000200
	s_cselect_b32 s59, 0x200, s59                              // 0000000056FC: 853B3BFF 00000200
	s_waitcnt lgkmcnt(0)                                       // 000000005704: BF8CC07F
	s_barrier                                                  // 000000005708: BF8A0000
	s_setvskip s20, 0                                          // 00000000570C: BF108014
	global_atomic_pk_add_bf16 v80, v64, s[8:9]                 // 000000005710: DD488000 00084050
	s_setvskip 0, 0                                            // 000000005718: BF108080
	s_setvskip s20, 0                                          // 00000000571C: BF108014
	global_atomic_pk_add_bf16 v80, v65, s[8:9] offset:256      // 000000005720: DD488100 00084150
	s_setvskip 0, 0                                            // 000000005728: BF108080
	s_setvskip s20, 1                                          // 00000000572C: BF108114
	global_atomic_pk_add_bf16 v82, v66, s[8:9]                 // 000000005730: DD488000 00084252
	s_setvskip 0, 0                                            // 000000005738: BF108080
	s_setvskip s20, 1                                          // 00000000573C: BF108114
	global_atomic_pk_add_bf16 v82, v67, s[8:9] offset:256      // 000000005740: DD488100 00084352
	s_setvskip 0, 0                                            // 000000005748: BF108080
	s_setvskip s20, 2                                          // 00000000574C: BF108214
	global_atomic_pk_add_bf16 v84, v68, s[8:9]                 // 000000005750: DD488000 00084454
	s_setvskip 0, 0                                            // 000000005758: BF108080
	s_setvskip s20, 2                                          // 00000000575C: BF108214
	global_atomic_pk_add_bf16 v84, v69, s[8:9] offset:256      // 000000005760: DD488100 00084554
	s_setvskip 0, 0                                            // 000000005768: BF108080
	s_setvskip s20, 3                                          // 00000000576C: BF108314
	global_atomic_pk_add_bf16 v86, v70, s[8:9]                 // 000000005770: DD488000 00084656
	s_setvskip 0, 0                                            // 000000005778: BF108080
	s_setvskip s20, 3                                          // 00000000577C: BF108314
	global_atomic_pk_add_bf16 v86, v71, s[8:9] offset:256      // 000000005780: DD488100 00084756
	s_setvskip 0, 0                                            // 000000005788: BF108080
	s_add_u32 s8, s59, s8                                      // 00000000578C: 8008083B
	s_addc_u32 s9, 0, s9                                       // 000000005790: 82090980
	s_addk_i32 s80, 0x100                                      // 000000005794: B7500100
	s_cmp_lt_i32 s80, s81                                      // 000000005798: BF045150
	s_cbranch_scc0 label_0B3D                                  // 00000000579C: BF8400D5
	s_waitcnt vmcnt(29) lgkmcnt(0)                             // 0000000057A0: BF8C407D
	s_barrier                                                  // 0000000057A4: BF8A0000
	v_mfma_f32_16x16x128_f8f6f4 v[176:179], a[128:135], v[128:135], 0// 0000000057A8: D3AD00B0 0A030180
	ds_read_b32 v64, v5 offset:29184                           // 0000000057B0: D86C7200 40000005
	ds_read_b32 v65, v5 offset:33536                           // 0000000057B8: D86C8300 41000005
	ds_read_b32 v66, v5 offset:29192                           // 0000000057C0: D86C7208 42000005
	ds_read_b32 v67, v5 offset:33544                           // 0000000057C8: D86C8308 43000005
	ds_read_b32 v68, v5 offset:29216                           // 0000000057D0: D86C7220 44000005
	ds_read_b32 v69, v5 offset:33568                           // 0000000057D8: D86C8320 45000005
	ds_read_b32 v70, v5 offset:29224                           // 0000000057E0: D86C7228 46000005
	ds_read_b32 v71, v5 offset:33576                           // 0000000057E8: D86C8328 47000005
	v_mfma_f32_16x16x128_f8f6f4 v[180:183], a[136:143], v[128:135], 0// 0000000057F0: D3AD00B4 0A030188
	buffer_load_dword v20, v6, s[16:19], 0 offen               // 0000000057F8: E0501000 80041406
	buffer_load_dwordx4 a[64:67], v37, s[12:15], 0 offen       // 000000005800: E05C1000 80834025
	buffer_load_dwordx4 a[68:71], v37, s[12:15], 0 offen offset:1024// 000000005808: E05C1400 80834425
	buffer_load_dwordx4 a[72:75], v38, s[12:15], 0 offen       // 000000005810: E05C1000 80834826
	buffer_load_dwordx4 a[76:79], v38, s[12:15], 0 offen offset:1024// 000000005818: E05C1400 80834C26
	s_waitcnt vmcnt(29)                                        // 000000005820: BF8C4F7D
	v_mfma_f32_16x16x128_f8f6f4 v[184:187], a[144:151], v[128:135], 0// 000000005824: D3AD00B8 0A030190
	v_mfma_f32_16x16x128_f8f6f4 v[188:191], a[152:159], v[128:135], 0// 00000000582C: D3AD00BC 0A030198
	buffer_load_dwordx4 a[80:83], v39, s[12:15], 0 offen       // 000000005834: E05C1000 80835027
	buffer_load_dwordx4 a[84:87], v39, s[12:15], 0 offen offset:1024// 00000000583C: E05C1400 80835427
	buffer_load_dwordx4 a[88:91], v40, s[12:15], 0 offen       // 000000005844: E05C1000 80835828
	buffer_load_dwordx4 a[92:95], v40, s[12:15], 0 offen offset:1024// 00000000584C: E05C1400 80835C28
	s_add_u32 s12, s78, s12                                    // 000000005854: 800C0C4E
	s_addc_u32 s13, 0, s13                                     // 000000005858: 820D0D80
	v_mul_f32_dpp v46, v21, v28 row_newbcast:0 row_mask:0xf bank_mask:0xf// 00000000585C: 0A5C38FA FF015015
	v_mov_b32_e32 v47, v46                                     // 000000005864: 7E5E032E
	v_pk_mul_f32 v[176:177], v[46:47], v[176:177]              // 000000005868: D3B140B0 1803612E
	v_pk_mul_f32 v[178:179], v[46:47], v[178:179]              // 000000005870: D3B140B2 1803652E
	v_pk_mul_f32 v[180:181], v[46:47], v[180:181]              // 000000005878: D3B140B4 1803692E
	v_pk_mul_f32 v[182:183], v[46:47], v[182:183]              // 000000005880: D3B140B6 18036D2E
	v_mul_f32_dpp v46, v21, v28 row_newbcast:1 row_mask:0xf bank_mask:0xf// 000000005888: 0A5C38FA FF015115
	v_mov_b32_e32 v47, v46                                     // 000000005890: 7E5E032E
	v_pk_mul_f32 v[184:185], v[46:47], v[184:185]              // 000000005894: D3B140B8 1803712E
	v_pk_mul_f32 v[186:187], v[46:47], v[186:187]              // 00000000589C: D3B140BA 1803752E
	v_pk_mul_f32 v[188:189], v[46:47], v[188:189]              // 0000000058A4: D3B140BC 1803792E
	v_pk_mul_f32 v[190:191], v[46:47], v[190:191]              // 0000000058AC: D3B140BE 18037D2E
	s_waitcnt vmcnt(29)                                        // 0000000058B4: BF8C4F7D
	v_mfma_f32_16x16x128_f8f6f4 v[144:147], a[160:167], v[136:143], 0// 0000000058B8: D3AD0090 0A0311A0
	ds_write_b64 v4, v[160:161] offset:11776                   // 0000000058C0: D89A2E00 0000A004
	ds_write_b64 v4, v[162:163] offset:13952                   // 0000000058C8: D89A3680 0000A204
	ds_write_b64 v4, v[164:165] offset:16128                   // 0000000058D0: D89A3F00 0000A404
	ds_write_b64 v4, v[166:167] offset:18304                   // 0000000058D8: D89A4780 0000A604
	v_mfma_f32_16x16x128_f8f6f4 v[148:151], a[168:175], v[136:143], 0// 0000000058E0: D3AD0094 0A0311A8
	buffer_load_dwordx4 a[96:99], v37, s[12:15], 0 offen       // 0000000058E8: E05C1000 80836025
	buffer_load_dwordx4 a[100:103], v37, s[12:15], 0 offen offset:1024// 0000000058F0: E05C1400 80836425
	buffer_load_dwordx4 a[104:107], v38, s[12:15], 0 offen     // 0000000058F8: E05C1000 80836826
	buffer_load_dwordx4 a[108:111], v38, s[12:15], 0 offen offset:1024// 000000005900: E05C1400 80836C26
	s_waitcnt vmcnt(29)                                        // 000000005908: BF8C4F7D
	v_mfma_f32_16x16x128_f8f6f4 v[152:155], a[176:183], v[136:143], 0// 00000000590C: D3AD0098 0A0311B0
	v_mfma_f32_16x16x128_f8f6f4 v[156:159], a[184:191], v[136:143], 0// 000000005914: D3AD009C 0A0311B8
	buffer_load_dwordx4 a[112:115], v39, s[12:15], 0 offen     // 00000000591C: E05C1000 80837027
	buffer_load_dwordx4 a[116:119], v39, s[12:15], 0 offen offset:1024// 000000005924: E05C1400 80837427
	buffer_load_dwordx4 a[120:123], v40, s[12:15], 0 offen     // 00000000592C: E05C1000 80837828
	buffer_load_dwordx4 a[124:127], v40, s[12:15], 0 offen offset:1024// 000000005934: E05C1400 80837C28
	v_mul_f32_dpp v46, v21, v29 row_newbcast:2 row_mask:0xf bank_mask:0xf// 00000000593C: 0A5C3AFA FF015215
	v_mov_b32_e32 v47, v46                                     // 000000005944: 7E5E032E
	v_pk_fma_f32 v[176:177], v[144:145], v[46:47], v[176:177]  // 000000005948: D3B040B0 1EC25D90
	v_pk_fma_f32 v[178:179], v[146:147], v[46:47], v[178:179]  // 000000005950: D3B040B2 1ECA5D92
	v_pk_fma_f32 v[180:181], v[148:149], v[46:47], v[180:181]  // 000000005958: D3B040B4 1ED25D94
	v_pk_fma_f32 v[182:183], v[150:151], v[46:47], v[182:183]  // 000000005960: D3B040B6 1EDA5D96
	v_mul_f32_dpp v46, v21, v29 row_newbcast:3 row_mask:0xf bank_mask:0xf// 000000005968: 0A5C3AFA FF015315
	v_mov_b32_e32 v47, v46                                     // 000000005970: 7E5E032E
	v_pk_fma_f32 v[184:185], v[152:153], v[46:47], v[184:185]  // 000000005974: D3B040B8 1EE25D98
	v_pk_fma_f32 v[186:187], v[154:155], v[46:47], v[186:187]  // 00000000597C: D3B040BA 1EEA5D9A
	v_pk_fma_f32 v[188:189], v[156:157], v[46:47], v[188:189]  // 000000005984: D3B040BC 1EF25D9C
	v_pk_fma_f32 v[190:191], v[158:159], v[46:47], v[190:191]  // 00000000598C: D3B040BE 1EFA5D9E
	s_add_u32 s60, 0x300, s80                                  // 000000005994: 803C50FF 00000300
	s_cmp_lt_u32 s60, s81                                      // 00000000599C: BF0A513C
	s_cselect_b32 s56, s56, 0                                  // 0000000059A0: 85388038
	s_cselect_b32 s78, s78, 0                                  // 0000000059A4: 854E804E
	s_cselect_b32 s79, s79, 0                                  // 0000000059A8: 854F804F
	s_add_u32 s12, s56, s12                                    // 0000000059AC: 800C0C38
	s_addc_u32 s13, 0, s13                                     // 0000000059B0: 820D0D80
	s_add_u32 s16, s79, s16                                    // 0000000059B4: 8010104F
	s_addc_u32 s17, 0, s17                                     // 0000000059B8: 82111180
	v_mov_b32_e32 v46, v23                                     // 0000000059BC: 7E5C0317
	v_mov_b32_e32 v47, v23                                     // 0000000059C0: 7E5E0317
	v_pk_mul_f32 v[176:177], v[46:47], v[176:177]              // 0000000059C4: D3B140B0 1803612E
	v_pk_mul_f32 v[178:179], v[46:47], v[178:179]              // 0000000059CC: D3B140B2 1803652E
	v_pk_mul_f32 v[180:181], v[46:47], v[180:181]              // 0000000059D4: D3B140B4 1803692E
	v_pk_mul_f32 v[182:183], v[46:47], v[182:183]              // 0000000059DC: D3B140B6 18036D2E
	v_pk_mul_f32 v[184:185], v[46:47], v[184:185]              // 0000000059E4: D3B140B8 1803712E
	v_pk_mul_f32 v[186:187], v[46:47], v[186:187]              // 0000000059EC: D3B140BA 1803752E
	v_pk_mul_f32 v[188:189], v[46:47], v[188:189]              // 0000000059F4: D3B140BC 1803792E
	v_pk_mul_f32 v[190:191], v[46:47], v[190:191]              // 0000000059FC: D3B140BE 18037D2E
	v_cvt_pk_bf16_f32 v176, v176, v177                         // 000000005A04: D26800B0 000363B0
	v_cvt_pk_bf16_f32 v177, v178, v179                         // 000000005A0C: D26800B1 000367B2
	v_cvt_pk_bf16_f32 v178, v180, v181                         // 000000005A14: D26800B2 00036BB4
	v_cvt_pk_bf16_f32 v179, v182, v183                         // 000000005A1C: D26800B3 00036FB6
	v_cvt_pk_bf16_f32 v180, v184, v185                         // 000000005A24: D26800B4 000373B8
	v_cvt_pk_bf16_f32 v181, v186, v187                         // 000000005A2C: D26800B5 000377BA
	v_cvt_pk_bf16_f32 v182, v188, v189                         // 000000005A34: D26800B6 00037BBC
	v_cvt_pk_bf16_f32 v183, v190, v191                         // 000000005A3C: D26800B7 00037FBE
	s_cmp_ge_u32 s80, 0x200                                    // 000000005A44: BF09FF50 00000200
	s_cselect_b32 s59, 0x200, s59                              // 000000005A4C: 853B3BFF 00000200
	s_waitcnt lgkmcnt(0)                                       // 000000005A54: BF8CC07F
	s_barrier                                                  // 000000005A58: BF8A0000
	s_setvskip s20, 0                                          // 000000005A5C: BF108014
	global_atomic_pk_add_bf16 v80, v64, s[8:9]                 // 000000005A60: DD488000 00084050
	s_setvskip 0, 0                                            // 000000005A68: BF108080
	s_setvskip s20, 0                                          // 000000005A6C: BF108014
	global_atomic_pk_add_bf16 v80, v65, s[8:9] offset:256      // 000000005A70: DD488100 00084150
	s_setvskip 0, 0                                            // 000000005A78: BF108080
	s_setvskip s20, 1                                          // 000000005A7C: BF108114
	global_atomic_pk_add_bf16 v82, v66, s[8:9]                 // 000000005A80: DD488000 00084252
	s_setvskip 0, 0                                            // 000000005A88: BF108080
	s_setvskip s20, 1                                          // 000000005A8C: BF108114
	global_atomic_pk_add_bf16 v82, v67, s[8:9] offset:256      // 000000005A90: DD488100 00084352
	s_setvskip 0, 0                                            // 000000005A98: BF108080
	s_setvskip s20, 2                                          // 000000005A9C: BF108214
	global_atomic_pk_add_bf16 v84, v68, s[8:9]                 // 000000005AA0: DD488000 00084454
	s_setvskip 0, 0                                            // 000000005AA8: BF108080
	s_setvskip s20, 2                                          // 000000005AAC: BF108214
	global_atomic_pk_add_bf16 v84, v69, s[8:9] offset:256      // 000000005AB0: DD488100 00084554
	s_setvskip 0, 0                                            // 000000005AB8: BF108080
	s_setvskip s20, 3                                          // 000000005ABC: BF108314
	global_atomic_pk_add_bf16 v86, v70, s[8:9]                 // 000000005AC0: DD488000 00084656
	s_setvskip 0, 0                                            // 000000005AC8: BF108080
	s_setvskip s20, 3                                          // 000000005ACC: BF108314
	global_atomic_pk_add_bf16 v86, v71, s[8:9] offset:256      // 000000005AD0: DD488100 00084756
	s_setvskip 0, 0                                            // 000000005AD8: BF108080
	s_add_u32 s8, s59, s8                                      // 000000005ADC: 8008083B
	s_addc_u32 s9, 0, s9                                       // 000000005AE0: 82090980
	s_addk_i32 s80, 0x100                                      // 000000005AE4: B7500100
	s_cmp_lt_i32 s80, s81                                      // 000000005AE8: BF045150
	s_cbranch_scc0 label_0B3D                                  // 000000005AEC: BF840001
	s_branch label_0644                                        // 000000005AF0: BF82FB07

0000000000005af4 <label_0B3D>:
	s_nop 0                                                    // 000000005AF4: BF800000
	s_nop 0                                                    // 000000005AF8: BF800000
	s_branch label_1407                                        // 000000005AFC: BF8208C7

0000000000005b00 <label_0B40>:
	s_waitcnt vmcnt(28) lgkmcnt(0)                             // 000000005B00: BF8C407C
	s_barrier                                                  // 000000005B04: BF8A0000
	v_mfma_f32_16x16x128_f8f6f4 v[144:147], a[0:7], v[160:167], 0// 000000005B08: D3AD0090 0A034100
	buffer_load_dwordx4 v31, s[20:23], 0 offen lds             // 000000005B10: E05D1000 8005001F
	s_add_u32 m0, m0, s76                                      // 000000005B18: 807C4C7C
	buffer_load_dword v7, s[28:31], 0 offen lds                // 000000005B1C: E0511000 80070007
	s_add_u32 m0, 0, s50                                       // 000000005B24: 807C3280
	buffer_load_dword v20, v11, s[32:35], 0 offen              // 000000005B28: E0501000 8008140B
	buffer_load_dword v22, v13, s[32:35], 0 offen              // 000000005B30: E0501000 8008160D
	buffer_load_dwordx4 a[128:131], v33, s[24:27], 0 offen     // 000000005B38: E05C1000 80868021
	buffer_load_dwordx4 a[132:135], v33, s[24:27], 0 offen offset:1024// 000000005B40: E05C1400 80868421
	buffer_load_dwordx4 a[136:139], v34, s[24:27], 0 offen     // 000000005B48: E05C1000 80868822
	buffer_load_dwordx4 a[140:143], v34, s[24:27], 0 offen offset:1024// 000000005B50: E05C1400 80868C22
	v_mfma_f32_16x16x128_f8f6f4 v[148:151], a[8:15], v[160:167], 0// 000000005B58: D3AD0094 0A034108
	s_waitcnt vmcnt(20)                                        // 000000005B60: BF8C4F74
	v_mfma_f32_16x16x128_f8f6f4 v[152:155], a[16:23], v[160:167], 0// 000000005B64: D3AD0098 0A034110
	buffer_load_dwordx4 a[144:147], v35, s[24:27], 0 offen     // 000000005B6C: E05C1000 80869023
	buffer_load_dwordx4 a[148:151], v35, s[24:27], 0 offen offset:1024// 000000005B74: E05C1400 80869423
	buffer_load_dwordx4 a[152:155], v36, s[24:27], 0 offen     // 000000005B7C: E05C1000 80869824
	buffer_load_dwordx4 a[156:159], v36, s[24:27], 0 offen offset:1024// 000000005B84: E05C1400 80869C24
	v_mfma_f32_16x16x128_f8f6f4 v[156:159], a[24:31], v[160:167], 0// 000000005B8C: D3AD009C 0A034118
	v_mul_f32_dpp v46, v19, v15 row_newbcast:0 row_mask:0xf bank_mask:0xf// 000000005B94: 0A5C1EFA FF015013
	v_mov_b32_e32 v47, v46                                     // 000000005B9C: 7E5E032E
	v_pk_fma_f32 v[128:129], v[144:145], v[46:47], v[128:129]  // 000000005BA0: D3B04080 1E025D90
	v_pk_fma_f32 v[130:131], v[146:147], v[46:47], v[130:131]  // 000000005BA8: D3B04082 1E0A5D92
	v_pk_fma_f32 v[132:133], v[148:149], v[46:47], v[132:133]  // 000000005BB0: D3B04084 1E125D94
	v_pk_fma_f32 v[134:135], v[150:151], v[46:47], v[134:135]  // 000000005BB8: D3B04086 1E1A5D96
	v_mul_f32_dpp v46, v19, v15 row_newbcast:1 row_mask:0xf bank_mask:0xf// 000000005BC0: 0A5C1EFA FF015113
	v_mov_b32_e32 v47, v46                                     // 000000005BC8: 7E5E032E
	v_pk_fma_f32 v[136:137], v[152:153], v[46:47], v[136:137]  // 000000005BCC: D3B04088 1E225D98
	v_pk_fma_f32 v[138:139], v[154:155], v[46:47], v[138:139]  // 000000005BD4: D3B0408A 1E2A5D9A
	v_pk_fma_f32 v[140:141], v[156:157], v[46:47], v[140:141]  // 000000005BDC: D3B0408C 1E325D9C
	v_pk_fma_f32 v[142:143], v[158:159], v[46:47], v[142:143]  // 000000005BE4: D3B0408E 1E3A5D9E
	s_waitcnt vmcnt(20)                                        // 000000005BEC: BF8C4F74
	v_mfma_f32_16x16x128_f8f6f4 v[144:147], a[32:39], v[168:175], 0// 000000005BF0: D3AD0090 0A035120
	buffer_load_dwordx4 a[160:163], v33, s[24:27], 0 offen offset:2048// 000000005BF8: E05C1800 8086A021
	buffer_load_dwordx4 a[164:167], v33, s[24:27], 0 offen offset:3072// 000000005C00: E05C1C00 8086A421
	buffer_load_dwordx4 a[168:171], v34, s[24:27], 0 offen offset:2048// 000000005C08: E05C1800 8086A822
	buffer_load_dwordx4 a[172:175], v34, s[24:27], 0 offen offset:3072// 000000005C10: E05C1C00 8086AC22
	v_mfma_f32_16x16x128_f8f6f4 v[148:151], a[40:47], v[168:175], 0// 000000005C18: D3AD0094 0A035128
	s_waitcnt vmcnt(20)                                        // 000000005C20: BF8C4F74
	v_mfma_f32_16x16x128_f8f6f4 v[152:155], a[48:55], v[168:175], 0// 000000005C24: D3AD0098 0A035130
	buffer_load_dwordx4 a[176:179], v35, s[24:27], 0 offen offset:2048// 000000005C2C: E05C1800 8086B023
	buffer_load_dwordx4 a[180:183], v35, s[24:27], 0 offen offset:3072// 000000005C34: E05C1C00 8086B423
	buffer_load_dwordx4 a[184:187], v36, s[24:27], 0 offen offset:2048// 000000005C3C: E05C1800 8086B824
	buffer_load_dwordx4 a[188:191], v36, s[24:27], 0 offen offset:3072// 000000005C44: E05C1C00 8086BC24
	v_mfma_f32_16x16x128_f8f6f4 v[156:159], a[56:63], v[168:175], 0// 000000005C4C: D3AD009C 0A035138
	v_mul_f32_dpp v46, v19, v16 row_newbcast:2 row_mask:0xf bank_mask:0xf// 000000005C54: 0A5C20FA FF015213
	v_mov_b32_e32 v47, v46                                     // 000000005C5C: 7E5E032E
	v_pk_fma_f32 v[128:129], v[144:145], v[46:47], v[128:129]  // 000000005C60: D3B04080 1E025D90
	v_pk_fma_f32 v[130:131], v[146:147], v[46:47], v[130:131]  // 000000005C68: D3B04082 1E0A5D92
	v_pk_fma_f32 v[132:133], v[148:149], v[46:47], v[132:133]  // 000000005C70: D3B04084 1E125D94
	v_pk_fma_f32 v[134:135], v[150:151], v[46:47], v[134:135]  // 000000005C78: D3B04086 1E1A5D96
	v_mul_f32_dpp v46, v19, v16 row_newbcast:3 row_mask:0xf bank_mask:0xf// 000000005C80: 0A5C20FA FF015313
	v_mov_b32_e32 v47, v46                                     // 000000005C88: 7E5E032E
	v_pk_fma_f32 v[136:137], v[152:153], v[46:47], v[136:137]  // 000000005C8C: D3B04088 1E225D98
	v_pk_fma_f32 v[138:139], v[154:155], v[46:47], v[138:139]  // 000000005C94: D3B0408A 1E2A5D9A
	v_pk_fma_f32 v[140:141], v[156:157], v[46:47], v[140:141]  // 000000005C9C: D3B0408C 1E325D9C
	v_pk_fma_f32 v[142:143], v[158:159], v[46:47], v[142:143]  // 000000005CA4: D3B0408E 1E3A5D9E
	s_add_u32 s60, 0x200, s80                                  // 000000005CAC: 803C50FF 00000200
	s_cmp_lt_u32 s60, s81                                      // 000000005CB4: BF0A513C
	s_cselect_b32 s4, s4, 0                                    // 000000005CB8: 85048004
	s_add_u32 s32, s4, s32                                     // 000000005CBC: 80202004
	s_addc_u32 s33, 0, s33                                     // 000000005CC0: 82212180
	s_waitcnt vmcnt(0)                                         // 000000005CC4: BF8C0F70
	s_barrier                                                  // 000000005CC8: BF8A0000
	v_mfma_f32_16x16x128_f8f6f4 v[144:147], a[64:71], v[160:167], 0// 000000005CCC: D3AD0090 0A034140
	buffer_load_dwordx4 a[192:195], v33, s[92:95], 0 offen     // 000000005CD4: E05C1000 8097C021
	buffer_load_dwordx4 a[196:199], v33, s[92:95], 0 offen offset:1024// 000000005CDC: E05C1400 8097C421
	buffer_load_dwordx4 a[200:203], v34, s[92:95], 0 offen     // 000000005CE4: E05C1000 8097C822
	buffer_load_dwordx4 a[204:207], v34, s[92:95], 0 offen offset:1024// 000000005CEC: E05C1400 8097CC22
	v_mfma_f32_16x16x128_f8f6f4 v[148:151], a[72:79], v[160:167], 0// 000000005CF4: D3AD0094 0A034148
	s_waitcnt vmcnt(4)                                         // 000000005CFC: BF8C0F74
	v_mfma_f32_16x16x128_f8f6f4 v[152:155], a[80:87], v[160:167], 0// 000000005D00: D3AD0098 0A034150
	buffer_load_dwordx4 a[208:211], v35, s[92:95], 0 offen     // 000000005D08: E05C1000 8097D023
	buffer_load_dwordx4 a[212:215], v35, s[92:95], 0 offen offset:1024// 000000005D10: E05C1400 8097D423
	buffer_load_dwordx4 a[216:219], v36, s[92:95], 0 offen     // 000000005D18: E05C1000 8097D824
	buffer_load_dwordx4 a[220:223], v36, s[92:95], 0 offen offset:1024// 000000005D20: E05C1400 8097DC24
	v_mfma_f32_16x16x128_f8f6f4 v[156:159], a[88:95], v[160:167], 0// 000000005D28: D3AD009C 0A034158
	v_mul_f32_dpp v46, v21, v15 row_newbcast:0 row_mask:0xf bank_mask:0xf// 000000005D30: 0A5C1EFA FF015015
	v_mov_b32_e32 v47, v46                                     // 000000005D38: 7E5E032E
	v_pk_fma_f32 v[64:65], v[144:145], v[46:47], v[64:65]      // 000000005D3C: D3B04040 1D025D90
	v_pk_fma_f32 v[66:67], v[146:147], v[46:47], v[66:67]      // 000000005D44: D3B04042 1D0A5D92
	v_pk_fma_f32 v[68:69], v[148:149], v[46:47], v[68:69]      // 000000005D4C: D3B04044 1D125D94
	v_pk_fma_f32 v[70:71], v[150:151], v[46:47], v[70:71]      // 000000005D54: D3B04046 1D1A5D96
	v_mul_f32_dpp v46, v21, v15 row_newbcast:1 row_mask:0xf bank_mask:0xf// 000000005D5C: 0A5C1EFA FF015115
	v_mov_b32_e32 v47, v46                                     // 000000005D64: 7E5E032E
	v_pk_fma_f32 v[72:73], v[152:153], v[46:47], v[72:73]      // 000000005D68: D3B04048 1D225D98
	v_pk_fma_f32 v[74:75], v[154:155], v[46:47], v[74:75]      // 000000005D70: D3B0404A 1D2A5D9A
	v_pk_fma_f32 v[76:77], v[156:157], v[46:47], v[76:77]      // 000000005D78: D3B0404C 1D325D9C
	v_pk_fma_f32 v[78:79], v[158:159], v[46:47], v[78:79]      // 000000005D80: D3B0404E 1D3A5D9E
	s_waitcnt vmcnt(4)                                         // 000000005D88: BF8C0F74
	v_mfma_f32_16x16x128_f8f6f4 v[144:147], a[96:103], v[168:175], 0// 000000005D8C: D3AD0090 0A035160
	buffer_load_dwordx4 a[224:227], v33, s[92:95], 0 offen offset:2048// 000000005D94: E05C1800 8097E021
	buffer_load_dwordx4 a[228:231], v33, s[92:95], 0 offen offset:3072// 000000005D9C: E05C1C00 8097E421
	buffer_load_dwordx4 a[232:235], v34, s[92:95], 0 offen offset:2048// 000000005DA4: E05C1800 8097E822
	buffer_load_dwordx4 a[236:239], v34, s[92:95], 0 offen offset:3072// 000000005DAC: E05C1C00 8097EC22
	v_mfma_f32_16x16x128_f8f6f4 v[148:151], a[104:111], v[168:175], 0// 000000005DB4: D3AD0094 0A035168
	ds_read_b128 v[176:179], v2 offset:5376                    // 000000005DBC: D9FE1500 B0000002
	ds_read_b128 v[180:183], v2 offset:5440                    // 000000005DC4: D9FE1540 B4000002
	ds_read_b32 v17, v3 offset:9728                            // 000000005DCC: D86C2600 11000003
	s_waitcnt vmcnt(4)                                         // 000000005DD4: BF8C0F74
	v_mfma_f32_16x16x128_f8f6f4 v[152:155], a[112:119], v[168:175], 0// 000000005DD8: D3AD0098 0A035170
	buffer_load_dwordx4 a[240:243], v35, s[92:95], 0 offen offset:2048// 000000005DE0: E05C1800 8097F023
	buffer_load_dwordx4 a[244:247], v35, s[92:95], 0 offen offset:3072// 000000005DE8: E05C1C00 8097F423
	buffer_load_dwordx4 a[248:251], v36, s[92:95], 0 offen offset:2048// 000000005DF0: E05C1800 8097F824
	buffer_load_dwordx4 a[252:255], v36, s[92:95], 0 offen offset:3072// 000000005DF8: E05C1C00 8097FC24
	v_mfma_f32_16x16x128_f8f6f4 v[156:159], a[120:127], v[168:175], 0// 000000005E00: D3AD009C 0A035178
	ds_read_b128 v[184:187], v2 offset:5888                    // 000000005E08: D9FE1700 B8000002
	ds_read_b128 v[188:191], v2 offset:5952                    // 000000005E10: D9FE1740 BC000002
	ds_read_b32 v18, v3 offset:9984                            // 000000005E18: D86C2700 12000003
	v_mul_f32_dpp v46, v21, v16 row_newbcast:2 row_mask:0xf bank_mask:0xf// 000000005E20: 0A5C20FA FF015215
	v_mov_b32_e32 v47, v46                                     // 000000005E28: 7E5E032E
	v_pk_fma_f32 v[64:65], v[144:145], v[46:47], v[64:65]      // 000000005E2C: D3B04040 1D025D90
	v_pk_fma_f32 v[66:67], v[146:147], v[46:47], v[66:67]      // 000000005E34: D3B04042 1D0A5D92
	v_pk_fma_f32 v[68:69], v[148:149], v[46:47], v[68:69]      // 000000005E3C: D3B04044 1D125D94
	v_pk_fma_f32 v[70:71], v[150:151], v[46:47], v[70:71]      // 000000005E44: D3B04046 1D1A5D96
	v_mul_f32_dpp v46, v21, v16 row_newbcast:3 row_mask:0xf bank_mask:0xf// 000000005E4C: 0A5C20FA FF015315
	v_mov_b32_e32 v47, v46                                     // 000000005E54: 7E5E032E
	v_pk_fma_f32 v[72:73], v[152:153], v[46:47], v[72:73]      // 000000005E58: D3B04048 1D225D98
	v_pk_fma_f32 v[74:75], v[154:155], v[46:47], v[74:75]      // 000000005E60: D3B0404A 1D2A5D9A
	v_pk_fma_f32 v[76:77], v[156:157], v[46:47], v[76:77]      // 000000005E68: D3B0404C 1D325D9C
	v_pk_fma_f32 v[78:79], v[158:159], v[46:47], v[78:79]      // 000000005E70: D3B0404E 1D3A5D9E
	s_add_u32 s60, 0x200, s80                                  // 000000005E78: 803C50FF 00000200
	s_cmp_lt_u32 s60, s81                                      // 000000005E80: BF0A513C
	s_cselect_b32 s57, s57, 0                                  // 000000005E84: 85398039
	s_cselect_b32 s3, s3, 0                                    // 000000005E88: 85038003
	s_add_u32 s60, 0x200, s80                                  // 000000005E8C: 803C50FF 00000200
	s_cmp_lt_u32 s60, s81                                      // 000000005E94: BF0A513C
	s_cselect_b32 s58, s58, 0                                  // 000000005E98: 853A803A
	s_cselect_b32 s90, s90, 0                                  // 000000005E9C: 855A805A
	s_add_u32 s20, s57, s20                                    // 000000005EA0: 80141439
	s_addc_u32 s21, 0, s21                                     // 000000005EA4: 82151580
	s_add_u32 s28, s3, s28                                     // 000000005EA8: 801C1C03
	s_addc_u32 s29, 0, s29                                     // 000000005EAC: 821D1D80
	s_add_u32 s24, s58, s24                                    // 000000005EB0: 8018183A
	s_addc_u32 s25, 0, s25                                     // 000000005EB4: 82191980
	s_add_u32 s92, s90, s92                                    // 000000005EB8: 805C5C5A
	s_addc_u32 s93, 0, s93                                     // 000000005EBC: 825D5D80
	s_addk_i32 s80, 0x100                                      // 000000005EC0: B7500100
	s_cmp_lt_i32 s80, s81                                      // 000000005EC4: BF045150
	s_cbranch_scc0 label_0D27                                  // 000000005EC8: BF8400F4
	s_waitcnt vmcnt(28) lgkmcnt(0)                             // 000000005ECC: BF8C407C
	s_barrier                                                  // 000000005ED0: BF8A0000
	v_mfma_f32_16x16x128_f8f6f4 v[144:147], a[128:135], v[176:183], 0// 000000005ED4: D3AD0090 0A036180
	buffer_load_dwordx4 v31, s[20:23], 0 offen lds             // 000000005EDC: E05D1000 8005001F
	s_add_u32 m0, m0, s76                                      // 000000005EE4: 807C4C7C
	buffer_load_dword v7, s[28:31], 0 offen lds                // 000000005EE8: E0511000 80070007
	s_add_u32 m0, 0, s51                                       // 000000005EF0: 807C3380
	buffer_load_dword v19, v11, s[32:35], 0 offen              // 000000005EF4: E0501000 8008130B
	buffer_load_dword v21, v13, s[32:35], 0 offen              // 000000005EFC: E0501000 8008150D
	buffer_load_dwordx4 a[0:3], v33, s[24:27], 0 offen         // 000000005F04: E05C1000 80860021
	buffer_load_dwordx4 a[4:7], v33, s[24:27], 0 offen offset:1024// 000000005F0C: E05C1400 80860421
	buffer_load_dwordx4 a[8:11], v34, s[24:27], 0 offen        // 000000005F14: E05C1000 80860822
	buffer_load_dwordx4 a[12:15], v34, s[24:27], 0 offen offset:1024// 000000005F1C: E05C1400 80860C22
	v_mfma_f32_16x16x128_f8f6f4 v[148:151], a[136:143], v[176:183], 0// 000000005F24: D3AD0094 0A036188
	s_waitcnt vmcnt(20)                                        // 000000005F2C: BF8C4F74
	v_mfma_f32_16x16x128_f8f6f4 v[152:155], a[144:151], v[176:183], 0// 000000005F30: D3AD0098 0A036190
	buffer_load_dwordx4 a[16:19], v35, s[24:27], 0 offen       // 000000005F38: E05C1000 80861023
	buffer_load_dwordx4 a[20:23], v35, s[24:27], 0 offen offset:1024// 000000005F40: E05C1400 80861423
	buffer_load_dwordx4 a[24:27], v36, s[24:27], 0 offen       // 000000005F48: E05C1000 80861824
	buffer_load_dwordx4 a[28:31], v36, s[24:27], 0 offen offset:1024// 000000005F50: E05C1400 80861C24
	v_mfma_f32_16x16x128_f8f6f4 v[156:159], a[152:159], v[176:183], 0// 000000005F58: D3AD009C 0A036198
	v_mul_f32_dpp v46, v20, v17 row_newbcast:0 row_mask:0xf bank_mask:0xf// 000000005F60: 0A5C22FA FF015014
	v_mov_b32_e32 v47, v46                                     // 000000005F68: 7E5E032E
	v_pk_fma_f32 v[128:129], v[144:145], v[46:47], v[128:129]  // 000000005F6C: D3B04080 1E025D90
	v_pk_fma_f32 v[130:131], v[146:147], v[46:47], v[130:131]  // 000000005F74: D3B04082 1E0A5D92
	v_pk_fma_f32 v[132:133], v[148:149], v[46:47], v[132:133]  // 000000005F7C: D3B04084 1E125D94
	v_pk_fma_f32 v[134:135], v[150:151], v[46:47], v[134:135]  // 000000005F84: D3B04086 1E1A5D96
	v_mul_f32_dpp v46, v20, v17 row_newbcast:1 row_mask:0xf bank_mask:0xf// 000000005F8C: 0A5C22FA FF015114
	v_mov_b32_e32 v47, v46                                     // 000000005F94: 7E5E032E
	v_pk_fma_f32 v[136:137], v[152:153], v[46:47], v[136:137]  // 000000005F98: D3B04088 1E225D98
	v_pk_fma_f32 v[138:139], v[154:155], v[46:47], v[138:139]  // 000000005FA0: D3B0408A 1E2A5D9A
	v_pk_fma_f32 v[140:141], v[156:157], v[46:47], v[140:141]  // 000000005FA8: D3B0408C 1E325D9C
	v_pk_fma_f32 v[142:143], v[158:159], v[46:47], v[142:143]  // 000000005FB0: D3B0408E 1E3A5D9E
	s_waitcnt vmcnt(20)                                        // 000000005FB8: BF8C4F74
	v_mfma_f32_16x16x128_f8f6f4 v[144:147], a[160:167], v[184:191], 0// 000000005FBC: D3AD0090 0A0371A0
	buffer_load_dwordx4 a[32:35], v33, s[24:27], 0 offen offset:2048// 000000005FC4: E05C1800 80862021
	buffer_load_dwordx4 a[36:39], v33, s[24:27], 0 offen offset:3072// 000000005FCC: E05C1C00 80862421
	buffer_load_dwordx4 a[40:43], v34, s[24:27], 0 offen offset:2048// 000000005FD4: E05C1800 80862822
	buffer_load_dwordx4 a[44:47], v34, s[24:27], 0 offen offset:3072// 000000005FDC: E05C1C00 80862C22
	v_mfma_f32_16x16x128_f8f6f4 v[148:151], a[168:175], v[184:191], 0// 000000005FE4: D3AD0094 0A0371A8
	s_waitcnt vmcnt(20)                                        // 000000005FEC: BF8C4F74
	v_mfma_f32_16x16x128_f8f6f4 v[152:155], a[176:183], v[184:191], 0// 000000005FF0: D3AD0098 0A0371B0
	buffer_load_dwordx4 a[48:51], v35, s[24:27], 0 offen offset:2048// 000000005FF8: E05C1800 80863023
	buffer_load_dwordx4 a[52:55], v35, s[24:27], 0 offen offset:3072// 000000006000: E05C1C00 80863423
	buffer_load_dwordx4 a[56:59], v36, s[24:27], 0 offen offset:2048// 000000006008: E05C1800 80863824
	buffer_load_dwordx4 a[60:63], v36, s[24:27], 0 offen offset:3072// 000000006010: E05C1C00 80863C24
	v_mfma_f32_16x16x128_f8f6f4 v[156:159], a[184:191], v[184:191], 0// 000000006018: D3AD009C 0A0371B8
	v_mul_f32_dpp v46, v20, v18 row_newbcast:2 row_mask:0xf bank_mask:0xf// 000000006020: 0A5C24FA FF015214
	v_mov_b32_e32 v47, v46                                     // 000000006028: 7E5E032E
	v_pk_fma_f32 v[128:129], v[144:145], v[46:47], v[128:129]  // 00000000602C: D3B04080 1E025D90
	v_pk_fma_f32 v[130:131], v[146:147], v[46:47], v[130:131]  // 000000006034: D3B04082 1E0A5D92
	v_pk_fma_f32 v[132:133], v[148:149], v[46:47], v[132:133]  // 00000000603C: D3B04084 1E125D94
	v_pk_fma_f32 v[134:135], v[150:151], v[46:47], v[134:135]  // 000000006044: D3B04086 1E1A5D96
	v_mul_f32_dpp v46, v20, v18 row_newbcast:3 row_mask:0xf bank_mask:0xf// 00000000604C: 0A5C24FA FF015314
	v_mov_b32_e32 v47, v46                                     // 000000006054: 7E5E032E
	v_pk_fma_f32 v[136:137], v[152:153], v[46:47], v[136:137]  // 000000006058: D3B04088 1E225D98
	v_pk_fma_f32 v[138:139], v[154:155], v[46:47], v[138:139]  // 000000006060: D3B0408A 1E2A5D9A
	v_pk_fma_f32 v[140:141], v[156:157], v[46:47], v[140:141]  // 000000006068: D3B0408C 1E325D9C
	v_pk_fma_f32 v[142:143], v[158:159], v[46:47], v[142:143]  // 000000006070: D3B0408E 1E3A5D9E
	s_add_u32 s60, 0x200, s80                                  // 000000006078: 803C50FF 00000200
	s_cmp_lt_u32 s60, s81                                      // 000000006080: BF0A513C
	s_cselect_b32 s4, s4, 0                                    // 000000006084: 85048004
	s_add_u32 s32, s4, s32                                     // 000000006088: 80202004
	s_addc_u32 s33, 0, s33                                     // 00000000608C: 82212180
	s_waitcnt vmcnt(0)                                         // 000000006090: BF8C0F70
	s_barrier                                                  // 000000006094: BF8A0000
	v_mfma_f32_16x16x128_f8f6f4 v[144:147], a[192:199], v[176:183], 0// 000000006098: D3AD0090 0A0361C0
	buffer_load_dwordx4 a[64:67], v33, s[92:95], 0 offen       // 0000000060A0: E05C1000 80974021
	buffer_load_dwordx4 a[68:71], v33, s[92:95], 0 offen offset:1024// 0000000060A8: E05C1400 80974421
	buffer_load_dwordx4 a[72:75], v34, s[92:95], 0 offen       // 0000000060B0: E05C1000 80974822
	buffer_load_dwordx4 a[76:79], v34, s[92:95], 0 offen offset:1024// 0000000060B8: E05C1400 80974C22
	v_mfma_f32_16x16x128_f8f6f4 v[148:151], a[200:207], v[176:183], 0// 0000000060C0: D3AD0094 0A0361C8
	s_waitcnt vmcnt(4)                                         // 0000000060C8: BF8C0F74
	v_mfma_f32_16x16x128_f8f6f4 v[152:155], a[208:215], v[176:183], 0// 0000000060CC: D3AD0098 0A0361D0
	buffer_load_dwordx4 a[80:83], v35, s[92:95], 0 offen       // 0000000060D4: E05C1000 80975023
	buffer_load_dwordx4 a[84:87], v35, s[92:95], 0 offen offset:1024// 0000000060DC: E05C1400 80975423
	buffer_load_dwordx4 a[88:91], v36, s[92:95], 0 offen       // 0000000060E4: E05C1000 80975824
	buffer_load_dwordx4 a[92:95], v36, s[92:95], 0 offen offset:1024// 0000000060EC: E05C1400 80975C24
	v_mfma_f32_16x16x128_f8f6f4 v[156:159], a[216:223], v[176:183], 0// 0000000060F4: D3AD009C 0A0361D8
	v_mul_f32_dpp v46, v22, v17 row_newbcast:0 row_mask:0xf bank_mask:0xf// 0000000060FC: 0A5C22FA FF015016
	v_mov_b32_e32 v47, v46                                     // 000000006104: 7E5E032E
	v_pk_fma_f32 v[64:65], v[144:145], v[46:47], v[64:65]      // 000000006108: D3B04040 1D025D90
	v_pk_fma_f32 v[66:67], v[146:147], v[46:47], v[66:67]      // 000000006110: D3B04042 1D0A5D92
	v_pk_fma_f32 v[68:69], v[148:149], v[46:47], v[68:69]      // 000000006118: D3B04044 1D125D94
	v_pk_fma_f32 v[70:71], v[150:151], v[46:47], v[70:71]      // 000000006120: D3B04046 1D1A5D96
	v_mul_f32_dpp v46, v22, v17 row_newbcast:1 row_mask:0xf bank_mask:0xf// 000000006128: 0A5C22FA FF015116
	v_mov_b32_e32 v47, v46                                     // 000000006130: 7E5E032E
	v_pk_fma_f32 v[72:73], v[152:153], v[46:47], v[72:73]      // 000000006134: D3B04048 1D225D98
	v_pk_fma_f32 v[74:75], v[154:155], v[46:47], v[74:75]      // 00000000613C: D3B0404A 1D2A5D9A
	v_pk_fma_f32 v[76:77], v[156:157], v[46:47], v[76:77]      // 000000006144: D3B0404C 1D325D9C
	v_pk_fma_f32 v[78:79], v[158:159], v[46:47], v[78:79]      // 00000000614C: D3B0404E 1D3A5D9E
	s_waitcnt vmcnt(4)                                         // 000000006154: BF8C0F74
	v_mfma_f32_16x16x128_f8f6f4 v[144:147], a[224:231], v[184:191], 0// 000000006158: D3AD0090 0A0371E0
	buffer_load_dwordx4 a[96:99], v33, s[92:95], 0 offen offset:2048// 000000006160: E05C1800 80976021
	buffer_load_dwordx4 a[100:103], v33, s[92:95], 0 offen offset:3072// 000000006168: E05C1C00 80976421
	buffer_load_dwordx4 a[104:107], v34, s[92:95], 0 offen offset:2048// 000000006170: E05C1800 80976822
	buffer_load_dwordx4 a[108:111], v34, s[92:95], 0 offen offset:3072// 000000006178: E05C1C00 80976C22
	v_mfma_f32_16x16x128_f8f6f4 v[148:151], a[232:239], v[184:191], 0// 000000006180: D3AD0094 0A0371E8
	ds_read_b128 v[160:163], v2                                // 000000006188: D9FE0000 A0000002
	ds_read_b128 v[164:167], v2 offset:64                      // 000000006190: D9FE0040 A4000002
	ds_read_b32 v15, v3 offset:4352                            // 000000006198: D86C1100 0F000003
	s_waitcnt vmcnt(4)                                         // 0000000061A0: BF8C0F74
	v_mfma_f32_16x16x128_f8f6f4 v[152:155], a[240:247], v[184:191], 0// 0000000061A4: D3AD0098 0A0371F0
	buffer_load_dwordx4 a[112:115], v35, s[92:95], 0 offen offset:2048// 0000000061AC: E05C1800 80977023
	buffer_load_dwordx4 a[116:119], v35, s[92:95], 0 offen offset:3072// 0000000061B4: E05C1C00 80977423
	buffer_load_dwordx4 a[120:123], v36, s[92:95], 0 offen offset:2048// 0000000061BC: E05C1800 80977824
	buffer_load_dwordx4 a[124:127], v36, s[92:95], 0 offen offset:3072// 0000000061C4: E05C1C00 80977C24
	v_mfma_f32_16x16x128_f8f6f4 v[156:159], a[248:255], v[184:191], 0// 0000000061CC: D3AD009C 0A0371F8
	ds_read_b128 v[168:171], v2 offset:512                     // 0000000061D4: D9FE0200 A8000002
	ds_read_b128 v[172:175], v2 offset:576                     // 0000000061DC: D9FE0240 AC000002
	ds_read_b32 v16, v3 offset:4608                            // 0000000061E4: D86C1200 10000003
	v_mul_f32_dpp v46, v22, v18 row_newbcast:2 row_mask:0xf bank_mask:0xf// 0000000061EC: 0A5C24FA FF015216
	v_mov_b32_e32 v47, v46                                     // 0000000061F4: 7E5E032E
	v_pk_fma_f32 v[64:65], v[144:145], v[46:47], v[64:65]      // 0000000061F8: D3B04040 1D025D90
	v_pk_fma_f32 v[66:67], v[146:147], v[46:47], v[66:67]      // 000000006200: D3B04042 1D0A5D92
	v_pk_fma_f32 v[68:69], v[148:149], v[46:47], v[68:69]      // 000000006208: D3B04044 1D125D94
	v_pk_fma_f32 v[70:71], v[150:151], v[46:47], v[70:71]      // 000000006210: D3B04046 1D1A5D96
	v_mul_f32_dpp v46, v22, v18 row_newbcast:3 row_mask:0xf bank_mask:0xf// 000000006218: 0A5C24FA FF015316
	v_mov_b32_e32 v47, v46                                     // 000000006220: 7E5E032E
	v_pk_fma_f32 v[72:73], v[152:153], v[46:47], v[72:73]      // 000000006224: D3B04048 1D225D98
	v_pk_fma_f32 v[74:75], v[154:155], v[46:47], v[74:75]      // 00000000622C: D3B0404A 1D2A5D9A
	v_pk_fma_f32 v[76:77], v[156:157], v[46:47], v[76:77]      // 000000006234: D3B0404C 1D325D9C
	v_pk_fma_f32 v[78:79], v[158:159], v[46:47], v[78:79]      // 00000000623C: D3B0404E 1D3A5D9E
	s_add_u32 s60, 0x200, s80                                  // 000000006244: 803C50FF 00000200
	s_cmp_lt_u32 s60, s81                                      // 00000000624C: BF0A513C
	s_cselect_b32 s57, s57, 0                                  // 000000006250: 85398039
	s_cselect_b32 s3, s3, 0                                    // 000000006254: 85038003
	s_add_u32 s60, 0x200, s80                                  // 000000006258: 803C50FF 00000200
	s_cmp_lt_u32 s60, s81                                      // 000000006260: BF0A513C
	s_cselect_b32 s58, s58, 0                                  // 000000006264: 853A803A
	s_cselect_b32 s90, s90, 0                                  // 000000006268: 855A805A
	s_add_u32 s20, s57, s20                                    // 00000000626C: 80141439
	s_addc_u32 s21, 0, s21                                     // 000000006270: 82151580
	s_add_u32 s28, s3, s28                                     // 000000006274: 801C1C03
	s_addc_u32 s29, 0, s29                                     // 000000006278: 821D1D80
	s_add_u32 s24, s58, s24                                    // 00000000627C: 8018183A
	s_addc_u32 s25, 0, s25                                     // 000000006280: 82191980
	s_add_u32 s92, s90, s92                                    // 000000006284: 805C5C5A
	s_addc_u32 s93, 0, s93                                     // 000000006288: 825D5D80
	s_addk_i32 s80, 0x100                                      // 00000000628C: B7500100
	s_cmp_lt_i32 s80, s81                                      // 000000006290: BF045150
	s_cbranch_scc0 label_0D27                                  // 000000006294: BF840001
	s_branch label_0B40                                        // 000000006298: BF82FE19

000000000000629c <label_0D27>:
	s_mov_b32 s20, 0                                           // 00000000629C: BE940080
	s_cmp_lt_u32 s89, s66                                      // 0000000062A0: BF0A4259
	s_cselect_b32 s60, 0, 1                                    // 0000000062A4: 853C8180
	s_lshl1_add_u32 s20, s20, s60                              // 0000000062A8: 97143C14
	s_cmp_lt_u32 s88, s66                                      // 0000000062AC: BF0A4258
	s_cselect_b32 s60, 0, 1                                    // 0000000062B0: 853C8180
	s_lshl1_add_u32 s20, s20, s60                              // 0000000062B4: 97143C14
	s_cmp_lt_u32 s87, s66                                      // 0000000062B8: BF0A4257
	s_cselect_b32 s60, 0, 1                                    // 0000000062BC: 853C8180
	s_lshl1_add_u32 s20, s20, s60                              // 0000000062C0: 97143C14
	s_cmp_lt_u32 s86, s66                                      // 0000000062C4: BF0A4256
	s_cselect_b32 s60, 0, 1                                    // 0000000062C8: 853C8180
	s_lshl1_add_u32 s20, s20, s60                              // 0000000062CC: 97143C14
	s_cmp_lt_u32 s85, s66                                      // 0000000062D0: BF0A4255
	s_cselect_b32 s60, 0, 1                                    // 0000000062D4: 853C8180
	s_lshl1_add_u32 s20, s20, s60                              // 0000000062D8: 97143C14
	s_cmp_lt_u32 s84, s66                                      // 0000000062DC: BF0A4254
	s_cselect_b32 s60, 0, 1                                    // 0000000062E0: 853C8180
	s_lshl1_add_u32 s20, s20, s60                              // 0000000062E4: 97143C14
	s_cmp_lt_u32 s83, s66                                      // 0000000062E8: BF0A4253
	s_cselect_b32 s60, 0, 1                                    // 0000000062EC: 853C8180
	s_lshl1_add_u32 s20, s20, s60                              // 0000000062F0: 97143C14
	s_cmp_lt_u32 s82, s66                                      // 0000000062F4: BF0A4252
	s_cselect_b32 s60, 0, 1                                    // 0000000062F8: 853C8180
	s_lshl1_add_u32 s20, s20, s60                              // 0000000062FC: 97143C14
	s_waitcnt vmcnt(12)                                        // 000000006300: BF8C0F7C
	buffer_load_dword v19, v6, s[16:19], 0 offen               // 000000006304: E0501000 80041306
	s_add_u32 s16, s79, s16                                    // 00000000630C: 8010104F
	s_addc_u32 s17, 0, s17                                     // 000000006310: 82111180
	buffer_load_dwordx4 a[0:3], v37, s[12:15], 0 offen         // 000000006314: E05C1000 80830025
	buffer_load_dwordx4 a[4:7], v37, s[12:15], 0 offen offset:1024// 00000000631C: E05C1400 80830425
	buffer_load_dwordx4 a[8:11], v38, s[12:15], 0 offen        // 000000006324: E05C1000 80830826
	buffer_load_dwordx4 a[12:15], v38, s[12:15], 0 offen offset:1024// 00000000632C: E05C1400 80830C26
	v_mul_f32_e64 v46, -v128, s6                               // 000000006334: D105002E 20000D80
	v_mul_f32_e64 v47, -v129, s6                               // 00000000633C: D105002F 20000D81
	v_mul_f32_e64 v48, -v130, s6                               // 000000006344: D1050030 20000D82
	v_mul_f32_e64 v49, -v131, s6                               // 00000000634C: D1050031 20000D83
	v_exp_f32_e32 v46, v46                                     // 000000006354: 7E5C412E
	v_exp_f32_e32 v47, v47                                     // 000000006358: 7E5E412F
	v_exp_f32_e32 v48, v48                                     // 00000000635C: 7E604130
	v_exp_f32_e32 v49, v49                                     // 000000006360: 7E624131
	buffer_load_dwordx4 a[16:19], v39, s[12:15], 0 offen       // 000000006364: E05C1000 80831027
	buffer_load_dwordx4 a[20:23], v39, s[12:15], 0 offen offset:1024// 00000000636C: E05C1400 80831427
	buffer_load_dwordx4 a[24:27], v40, s[12:15], 0 offen       // 000000006374: E05C1000 80831828
	buffer_load_dwordx4 a[28:31], v40, s[12:15], 0 offen offset:1024// 00000000637C: E05C1400 80831C28
	s_add_u32 s12, s78, s12                                    // 000000006384: 800C0C4E
	s_addc_u32 s13, 0, s13                                     // 000000006388: 820D0D80
	v_add_f32_e64 v46, v46, 1.0                                // 00000000638C: D101002E 0001E52E
	v_add_f32_e64 v47, v47, 1.0                                // 000000006394: D101002F 0001E52F
	v_add_f32_e64 v48, v48, 1.0                                // 00000000639C: D1010030 0001E530
	v_add_f32_e64 v49, v49, 1.0                                // 0000000063A4: D1010031 0001E531
	v_rcp_f32_e32 v46, v46                                     // 0000000063AC: 7E5C452E
	v_rcp_f32_e32 v47, v47                                     // 0000000063B0: 7E5E452F
	v_rcp_f32_e32 v48, v48                                     // 0000000063B4: 7E604530
	v_rcp_f32_e32 v49, v49                                     // 0000000063B8: 7E624531
	v_mul_f32_e32 v128, v128, v46                              // 0000000063BC: 0B005D80
	v_mul_f32_e32 v129, v129, v47                              // 0000000063C0: 0B025F81
	v_mul_f32_e32 v130, v130, v48                              // 0000000063C4: 0B046182
	v_mul_f32_e32 v131, v131, v49                              // 0000000063C8: 0B066383
	v_mul_f32_e32 v128, v128, v64                              // 0000000063CC: 0B008180
	v_mul_f32_e32 v129, v129, v65                              // 0000000063D0: 0B028381
	v_mul_f32_e32 v130, v130, v66                              // 0000000063D4: 0B048582
	v_mul_f32_e32 v131, v131, v67                              // 0000000063D8: 0B068783
	s_waitcnt vmcnt(12)                                        // 0000000063DC: BF8C0F7C
	buffer_load_dwordx4 a[32:35], v37, s[12:15], 0 offen       // 0000000063E0: E05C1000 80832025
	buffer_load_dwordx4 a[36:39], v37, s[12:15], 0 offen offset:1024// 0000000063E8: E05C1400 80832425
	buffer_load_dwordx4 a[40:43], v38, s[12:15], 0 offen       // 0000000063F0: E05C1000 80832826
	buffer_load_dwordx4 a[44:47], v38, s[12:15], 0 offen offset:1024// 0000000063F8: E05C1400 80832C26
	v_mul_f32_e64 v46, -v132, s6                               // 000000006400: D105002E 20000D84
	v_mul_f32_e64 v47, -v133, s6                               // 000000006408: D105002F 20000D85
	v_mul_f32_e64 v48, -v134, s6                               // 000000006410: D1050030 20000D86
	v_mul_f32_e64 v49, -v135, s6                               // 000000006418: D1050031 20000D87
	v_exp_f32_e32 v46, v46                                     // 000000006420: 7E5C412E
	v_exp_f32_e32 v47, v47                                     // 000000006424: 7E5E412F
	v_exp_f32_e32 v48, v48                                     // 000000006428: 7E604130
	v_exp_f32_e32 v49, v49                                     // 00000000642C: 7E624131
	buffer_load_dwordx4 a[48:51], v39, s[12:15], 0 offen       // 000000006430: E05C1000 80833027
	buffer_load_dwordx4 a[52:55], v39, s[12:15], 0 offen offset:1024// 000000006438: E05C1400 80833427
	buffer_load_dwordx4 a[56:59], v40, s[12:15], 0 offen       // 000000006440: E05C1000 80833828
	buffer_load_dwordx4 a[60:63], v40, s[12:15], 0 offen offset:1024// 000000006448: E05C1400 80833C28
	s_add_u32 s12, s56, s12                                    // 000000006450: 800C0C38
	s_addc_u32 s13, 0, s13                                     // 000000006454: 820D0D80
	v_add_f32_e64 v46, v46, 1.0                                // 000000006458: D101002E 0001E52E
	v_add_f32_e64 v47, v47, 1.0                                // 000000006460: D101002F 0001E52F
	v_add_f32_e64 v48, v48, 1.0                                // 000000006468: D1010030 0001E530
	v_add_f32_e64 v49, v49, 1.0                                // 000000006470: D1010031 0001E531
	v_rcp_f32_e32 v46, v46                                     // 000000006478: 7E5C452E
	v_rcp_f32_e32 v47, v47                                     // 00000000647C: 7E5E452F
	v_rcp_f32_e32 v48, v48                                     // 000000006480: 7E604530
	v_rcp_f32_e32 v49, v49                                     // 000000006484: 7E624531
	v_mul_f32_e32 v132, v132, v46                              // 000000006488: 0B085D84
	v_mul_f32_e32 v133, v133, v47                              // 00000000648C: 0B0A5F85
	v_mul_f32_e32 v134, v134, v48                              // 000000006490: 0B0C6186
	v_mul_f32_e32 v135, v135, v49                              // 000000006494: 0B0E6387
	v_mul_f32_e32 v132, v132, v68                              // 000000006498: 0B088984
	v_mul_f32_e32 v133, v133, v69                              // 00000000649C: 0B0A8B85
	v_mul_f32_e32 v134, v134, v70                              // 0000000064A0: 0B0C8D86
	v_mul_f32_e32 v135, v135, v71                              // 0000000064A4: 0B0E8F87
	s_waitcnt vmcnt(12)                                        // 0000000064A8: BF8C0F7C
	buffer_load_dword v20, v6, s[16:19], 0 offen               // 0000000064AC: E0501000 80041406
	s_add_u32 s16, s79, s16                                    // 0000000064B4: 8010104F
	s_addc_u32 s17, 0, s17                                     // 0000000064B8: 82111180
	buffer_load_dwordx4 a[64:67], v37, s[12:15], 0 offen       // 0000000064BC: E05C1000 80834025
	buffer_load_dwordx4 a[68:71], v37, s[12:15], 0 offen offset:1024// 0000000064C4: E05C1400 80834425
	buffer_load_dwordx4 a[72:75], v38, s[12:15], 0 offen       // 0000000064CC: E05C1000 80834826
	buffer_load_dwordx4 a[76:79], v38, s[12:15], 0 offen offset:1024// 0000000064D4: E05C1400 80834C26
	v_mul_f32_e64 v46, -v136, s6                               // 0000000064DC: D105002E 20000D88
	v_mul_f32_e64 v47, -v137, s6                               // 0000000064E4: D105002F 20000D89
	v_mul_f32_e64 v48, -v138, s6                               // 0000000064EC: D1050030 20000D8A
	v_mul_f32_e64 v49, -v139, s6                               // 0000000064F4: D1050031 20000D8B
	v_exp_f32_e32 v46, v46                                     // 0000000064FC: 7E5C412E
	v_exp_f32_e32 v47, v47                                     // 000000006500: 7E5E412F
	v_exp_f32_e32 v48, v48                                     // 000000006504: 7E604130
	v_exp_f32_e32 v49, v49                                     // 000000006508: 7E624131
	buffer_load_dwordx4 a[80:83], v39, s[12:15], 0 offen       // 00000000650C: E05C1000 80835027
	buffer_load_dwordx4 a[84:87], v39, s[12:15], 0 offen offset:1024// 000000006514: E05C1400 80835427
	buffer_load_dwordx4 a[88:91], v40, s[12:15], 0 offen       // 00000000651C: E05C1000 80835828
	buffer_load_dwordx4 a[92:95], v40, s[12:15], 0 offen offset:1024// 000000006524: E05C1400 80835C28
	s_add_u32 s12, s78, s12                                    // 00000000652C: 800C0C4E
	s_addc_u32 s13, 0, s13                                     // 000000006530: 820D0D80
	v_add_f32_e64 v46, v46, 1.0                                // 000000006534: D101002E 0001E52E
	v_add_f32_e64 v47, v47, 1.0                                // 00000000653C: D101002F 0001E52F
	v_add_f32_e64 v48, v48, 1.0                                // 000000006544: D1010030 0001E530
	v_add_f32_e64 v49, v49, 1.0                                // 00000000654C: D1010031 0001E531
	v_rcp_f32_e32 v46, v46                                     // 000000006554: 7E5C452E
	v_rcp_f32_e32 v47, v47                                     // 000000006558: 7E5E452F
	v_rcp_f32_e32 v48, v48                                     // 00000000655C: 7E604530
	v_rcp_f32_e32 v49, v49                                     // 000000006560: 7E624531
	v_mul_f32_e32 v136, v136, v46                              // 000000006564: 0B105D88
	v_mul_f32_e32 v137, v137, v47                              // 000000006568: 0B125F89
	v_mul_f32_e32 v138, v138, v48                              // 00000000656C: 0B14618A
	v_mul_f32_e32 v139, v139, v49                              // 000000006570: 0B16638B
	v_mul_f32_e32 v136, v136, v72                              // 000000006574: 0B109188
	v_mul_f32_e32 v137, v137, v73                              // 000000006578: 0B129389
	v_mul_f32_e32 v138, v138, v74                              // 00000000657C: 0B14958A
	v_mul_f32_e32 v139, v139, v75                              // 000000006580: 0B16978B
	s_waitcnt vmcnt(12)                                        // 000000006584: BF8C0F7C
	buffer_load_dwordx4 a[96:99], v37, s[12:15], 0 offen       // 000000006588: E05C1000 80836025
	buffer_load_dwordx4 a[100:103], v37, s[12:15], 0 offen offset:1024// 000000006590: E05C1400 80836425
	buffer_load_dwordx4 a[104:107], v38, s[12:15], 0 offen     // 000000006598: E05C1000 80836826
	buffer_load_dwordx4 a[108:111], v38, s[12:15], 0 offen offset:1024// 0000000065A0: E05C1400 80836C26
	v_mul_f32_e64 v46, -v140, s6                               // 0000000065A8: D105002E 20000D8C
	v_mul_f32_e64 v47, -v141, s6                               // 0000000065B0: D105002F 20000D8D
	v_mul_f32_e64 v48, -v142, s6                               // 0000000065B8: D1050030 20000D8E
	v_mul_f32_e64 v49, -v143, s6                               // 0000000065C0: D1050031 20000D8F
	v_exp_f32_e32 v46, v46                                     // 0000000065C8: 7E5C412E
	v_exp_f32_e32 v47, v47                                     // 0000000065CC: 7E5E412F
	v_exp_f32_e32 v48, v48                                     // 0000000065D0: 7E604130
	v_exp_f32_e32 v49, v49                                     // 0000000065D4: 7E624131
	buffer_load_dwordx4 a[112:115], v39, s[12:15], 0 offen     // 0000000065D8: E05C1000 80837027
	buffer_load_dwordx4 a[116:119], v39, s[12:15], 0 offen offset:1024// 0000000065E0: E05C1400 80837427
	buffer_load_dwordx4 a[120:123], v40, s[12:15], 0 offen     // 0000000065E8: E05C1000 80837828
	buffer_load_dwordx4 a[124:127], v40, s[12:15], 0 offen offset:1024// 0000000065F0: E05C1400 80837C28
	s_add_u32 s12, s56, s12                                    // 0000000065F8: 800C0C38
	s_addc_u32 s13, 0, s13                                     // 0000000065FC: 820D0D80
	v_add_f32_e64 v46, v46, 1.0                                // 000000006600: D101002E 0001E52E
	v_add_f32_e64 v47, v47, 1.0                                // 000000006608: D101002F 0001E52F
	v_add_f32_e64 v48, v48, 1.0                                // 000000006610: D1010030 0001E530
	v_add_f32_e64 v49, v49, 1.0                                // 000000006618: D1010031 0001E531
	v_rcp_f32_e32 v46, v46                                     // 000000006620: 7E5C452E
	v_rcp_f32_e32 v47, v47                                     // 000000006624: 7E5E452F
	v_rcp_f32_e32 v48, v48                                     // 000000006628: 7E604530
	v_rcp_f32_e32 v49, v49                                     // 00000000662C: 7E624531
	v_mul_f32_e32 v140, v140, v46                              // 000000006630: 0B185D8C
	v_mul_f32_e32 v141, v141, v47                              // 000000006634: 0B1A5F8D
	v_mul_f32_e32 v142, v142, v48                              // 000000006638: 0B1C618E
	v_mul_f32_e32 v143, v143, v49                              // 00000000663C: 0B1E638F
	v_mul_f32_e32 v140, v140, v76                              // 000000006640: 0B18998C
	v_mul_f32_e32 v141, v141, v77                              // 000000006644: 0B1A9B8D
	v_mul_f32_e32 v142, v142, v78                              // 000000006648: 0B1C9D8E
	v_mul_f32_e32 v143, v143, v79                              // 00000000664C: 0B1E9F8F
	v_lshlrev_b32_e32 v46, 2, v0                               // 000000006650: 245C0082
	s_mul_i32 s60, s82, s71                                    // 000000006654: 923C4752
	v_add_u32_e64 v80, v46, s60                                // 000000006658: D1340050 0000792E
	v_mov_b32_e32 v81, 0                                       // 000000006660: 7EA20280
	s_mul_i32 s60, s83, s71                                    // 000000006664: 923C4753
	v_add_u32_e64 v82, v46, s60                                // 000000006668: D1340052 0000792E
	v_mov_b32_e32 v83, 0                                       // 000000006670: 7EA60280
	s_mul_i32 s60, s84, s71                                    // 000000006674: 923C4754
	v_add_u32_e64 v84, v46, s60                                // 000000006678: D1340054 0000792E
	v_mov_b32_e32 v85, 0                                       // 000000006680: 7EAA0280
	s_mul_i32 s60, s85, s71                                    // 000000006684: 923C4755
	v_add_u32_e64 v86, v46, s60                                // 000000006688: D1340056 0000792E
	v_mov_b32_e32 v87, 0                                       // 000000006690: 7EAE0280
	v_mov_b32_e32 v26, 0x358637bd                              // 000000006694: 7E3402FF 358637BD
	v_max3_f32 v26, |v128|, |v129|, v26                        // 00000000669C: D1D3031A 046B0380
	v_max3_f32 v26, |v130|, |v131|, v26                        // 0000000066A4: D1D3031A 046B0782
	v_max3_f32 v26, |v132|, |v133|, v26                        // 0000000066AC: D1D3031A 046B0B84
	v_max3_f32 v26, |v134|, |v135|, v26                        // 0000000066B4: D1D3031A 046B0F86
	v_mov_b32_e32 v46, v26                                     // 0000000066BC: 7E5C031A
	s_nop 1                                                    // 0000000066C0: BF800001
	v_permlane32_swap_b32_e32 v46, v26                         // 0000000066C4: 7E5CB51A
	v_max_f32_e32 v26, v46, v26                                // 0000000066C8: 1634352E
	v_mov_b32_e32 v46, v26                                     // 0000000066CC: 7E5C031A
	s_nop 1                                                    // 0000000066D0: BF800001
	v_permlane16_swap_b32_e32 v46, v26                         // 0000000066D4: 7E5CB31A
	v_max_f32_e32 v26, v46, v26                                // 0000000066D8: 1634352E
	v_lshlrev_b32_e32 v46, 2, v0                               // 0000000066DC: 245C0082
	s_mul_i32 s60, 64, s7                                      // 0000000066E0: 923C07C0
	v_add_u32_e32 v46, s60, v46                                // 0000000066E4: 685C5C3C
	s_mov_b32 s60, 0xffff                                      // 0000000066E8: BEBC00FF 0000FFFF
	s_mov_b32 s61, 0                                           // 0000000066F0: BEBD0080
	s_mov_b64 exec, s[60:61]                                   // 0000000066F4: BEFE013C
	ds_write_b32 v46, v26 offset:10752                         // 0000000066F8: D81A2A00 00001A2E
	s_mov_b32 s60, -1                                          // 000000006700: BEBC00C1
	s_mov_b32 s61, -1                                          // 000000006704: BEBD00C1
	s_mov_b64 exec, s[60:61]                                   // 000000006708: BEFE013C
	s_waitcnt lgkmcnt(0)                                       // 00000000670C: BF8CC07F
	s_barrier                                                  // 000000006710: BF8A0000
	v_lshlrev_b32_e32 v46, 2, v0                               // 000000006714: 245C0082
	ds_read_b32 v144, v46 offset:10752                         // 000000006718: D86C2A00 9000002E
	s_waitcnt lgkmcnt(0)                                       // 000000006720: BF8CC07F
	v_mov_b32_e32 v46, v144                                    // 000000006724: 7E5C0390
	s_nop 1                                                    // 000000006728: BF800001
	v_permlane32_swap_b32_e32 v46, v144                        // 00000000672C: 7E5CB590
	v_max_f32_e32 v144, v46, v144                              // 000000006730: 1721212E
	v_mov_b32_e32 v46, v144                                    // 000000006734: 7E5C0390
	s_nop 1                                                    // 000000006738: BF800001
	v_permlane16_swap_b32_e32 v46, v144                        // 00000000673C: 7E5CB390
	v_max_f32_e32 v144, v46, v144                              // 000000006740: 1721212E
	v_max_f32_e32 v26, v144, v26                               // 000000006744: 16343590
	v_rcp_f32_e32 v26, v26                                     // 000000006748: 7E34451A
	v_mov_b32_e32 v46, 0x43e00000                              // 00000000674C: 7E5C02FF 43E00000
	v_mul_f32_e32 v26, v46, v26                                // 000000006754: 0A34352E
	v_mul_f32_e32 v128, v26, v128                              // 000000006758: 0B01011A
	v_mul_f32_e32 v129, v26, v129                              // 00000000675C: 0B03031A
	v_mul_f32_e32 v130, v26, v130                              // 000000006760: 0B05051A
	v_mul_f32_e32 v131, v26, v131                              // 000000006764: 0B07071A
	v_cvt_pk_fp8_f32 v128, v128, v129                          // 000000006768: D2A20080 00030380
	v_cvt_pk_fp8_f32 v128, v130, v131 op_sel:[0,0,1]           // 000000006770: D2A24080 00030782
	v_mul_f32_e32 v132, v26, v132                              // 000000006778: 0B09091A
	v_mul_f32_e32 v133, v26, v133                              // 00000000677C: 0B0B0B1A
	v_mul_f32_e32 v134, v26, v134                              // 000000006780: 0B0D0D1A
	v_mul_f32_e32 v135, v26, v135                              // 000000006784: 0B0F0F1A
	v_cvt_pk_fp8_f32 v129, v132, v133                          // 000000006788: D2A20081 00030B84
	v_cvt_pk_fp8_f32 v129, v134, v135 op_sel:[0,0,1]           // 000000006790: D2A24081 00030F86
	v_rcp_f32_e32 v28, v26                                     // 000000006798: 7E38451A
	v_nop                                                      // 00000000679C: 7E000000
	v_mov_b32_e32 v26, 0x358637bd                              // 0000000067A0: 7E3402FF 358637BD
	v_max3_f32 v26, |v136|, |v137|, v26                        // 0000000067A8: D1D3031A 046B1388
	v_max3_f32 v26, |v138|, |v139|, v26                        // 0000000067B0: D1D3031A 046B178A
	v_max3_f32 v26, |v140|, |v141|, v26                        // 0000000067B8: D1D3031A 046B1B8C
	v_max3_f32 v26, |v142|, |v143|, v26                        // 0000000067C0: D1D3031A 046B1F8E
	v_mov_b32_e32 v46, v26                                     // 0000000067C8: 7E5C031A
	s_nop 1                                                    // 0000000067CC: BF800001
	v_permlane32_swap_b32_e32 v46, v26                         // 0000000067D0: 7E5CB51A
	v_max_f32_e32 v26, v46, v26                                // 0000000067D4: 1634352E
	v_mov_b32_e32 v46, v26                                     // 0000000067D8: 7E5C031A
	s_nop 1                                                    // 0000000067DC: BF800001
	v_permlane16_swap_b32_e32 v46, v26                         // 0000000067E0: 7E5CB31A
	v_max_f32_e32 v26, v46, v26                                // 0000000067E4: 1634352E
	v_lshlrev_b32_e32 v46, 2, v0                               // 0000000067E8: 245C0082
	s_mul_i32 s60, 64, s7                                      // 0000000067EC: 923C07C0
	v_add_u32_e32 v46, s60, v46                                // 0000000067F0: 685C5C3C
	s_mov_b32 s60, 0xffff                                      // 0000000067F4: BEBC00FF 0000FFFF
	s_mov_b32 s61, 0                                           // 0000000067FC: BEBD0080
	s_mov_b64 exec, s[60:61]                                   // 000000006800: BEFE013C
	ds_write_b32 v46, v26 offset:10752                         // 000000006804: D81A2A00 00001A2E
	s_mov_b32 s60, -1                                          // 00000000680C: BEBC00C1
	s_mov_b32 s61, -1                                          // 000000006810: BEBD00C1
	s_mov_b64 exec, s[60:61]                                   // 000000006814: BEFE013C
	s_waitcnt lgkmcnt(0)                                       // 000000006818: BF8CC07F
	s_barrier                                                  // 00000000681C: BF8A0000
	v_lshlrev_b32_e32 v46, 2, v0                               // 000000006820: 245C0082
	ds_read_b32 v144, v46 offset:10752                         // 000000006824: D86C2A00 9000002E
	s_waitcnt lgkmcnt(0)                                       // 00000000682C: BF8CC07F
	v_mov_b32_e32 v46, v144                                    // 000000006830: 7E5C0390
	s_nop 1                                                    // 000000006834: BF800001
	v_permlane32_swap_b32_e32 v46, v144                        // 000000006838: 7E5CB590
	v_max_f32_e32 v144, v46, v144                              // 00000000683C: 1721212E
	v_mov_b32_e32 v46, v144                                    // 000000006840: 7E5C0390
	s_nop 1                                                    // 000000006844: BF800001
	v_permlane16_swap_b32_e32 v46, v144                        // 000000006848: 7E5CB390
	v_max_f32_e32 v144, v46, v144                              // 00000000684C: 1721212E
	v_max_f32_e32 v26, v144, v26                               // 000000006850: 16343590
	v_rcp_f32_e32 v26, v26                                     // 000000006854: 7E34451A
	v_mov_b32_e32 v46, 0x43e00000                              // 000000006858: 7E5C02FF 43E00000
	v_mul_f32_e32 v26, v46, v26                                // 000000006860: 0A34352E
	v_mul_f32_e32 v136, v26, v136                              // 000000006864: 0B11111A
	v_mul_f32_e32 v137, v26, v137                              // 000000006868: 0B13131A
	v_mul_f32_e32 v138, v26, v138                              // 00000000686C: 0B15151A
	v_mul_f32_e32 v139, v26, v139                              // 000000006870: 0B17171A
	v_cvt_pk_fp8_f32 v130, v136, v137                          // 000000006874: D2A20082 00031388
	v_cvt_pk_fp8_f32 v130, v138, v139 op_sel:[0,0,1]           // 00000000687C: D2A24082 0003178A
	v_mul_f32_e32 v140, v26, v140                              // 000000006884: 0B19191A
	v_mul_f32_e32 v141, v26, v141                              // 000000006888: 0B1B1B1A
	v_mul_f32_e32 v142, v26, v142                              // 00000000688C: 0B1D1D1A
	v_mul_f32_e32 v143, v26, v143                              // 000000006890: 0B1F1F1A
	v_cvt_pk_fp8_f32 v131, v140, v141                          // 000000006894: D2A20083 00031B8C
	v_cvt_pk_fp8_f32 v131, v142, v143 op_sel:[0,0,1]           // 00000000689C: D2A24083 00031F8E
	v_rcp_f32_e32 v29, v26                                     // 0000000068A4: 7E3A451A
	v_nop                                                      // 0000000068A8: 7E000000
	v_lshrrev_b32_e32 v46, 5, v0                               // 0000000068AC: 205C0085
	v_lshlrev_b32_e32 v47, 6, v46                              // 0000000068B0: 245E5C86
	v_and_b32_e32 v46, 31, v0                                  // 0000000068B4: 265C009F
	v_lshrrev_b32_e32 v48, 4, v46                              // 0000000068B8: 20605C84
	v_add_u32_e32 v47, v48, v47                                // 0000000068BC: 685E5F30
	v_and_b32_e32 v46, 15, v0                                  // 0000000068C0: 265C008F
	v_lshlrev_b32_e32 v46, 1, v46                              // 0000000068C4: 245C5C81
	v_add_u32_e32 v47, v46, v47                                // 0000000068C8: 685E5F2E
	v_lshlrev_b32_e32 v46, 2, v47                              // 0000000068CC: 245C5E82
	s_mov_b32 s60, 0                                           // 0000000068D0: BEBC0080
	s_lshr_b32 s61, s7, 1                                      // 0000000068D4: 8F3D8107
	s_mul_i32 s61, s61, 0x200                                  // 0000000068D8: 923DFF3D 00000200
	s_add_u32 s60, s61, s60                                    // 0000000068E0: 803C3C3D
	s_and_b32 s61, s7, 1                                       // 0000000068E4: 863D8107
	s_mul_i32 s61, s61, 0x80                                   // 0000000068E8: 923DFF3D 00000080
	s_add_u32 s60, s61, s60                                    // 0000000068F0: 803C3C3D
	v_add_u32_e64 v46, v46, s60                                // 0000000068F4: D134002E 0000792E
	ds_write_b32 v46, v128 offset:11776                        // 0000000068FC: D81A2E00 0000802E
	ds_write_b32 v46, v129 offset:12800                        // 000000006904: D81A3200 0000812E
	ds_write_b32 v46, v130 offset:13824                        // 00000000690C: D81A3600 0000822E
	ds_write_b32 v46, v131 offset:14848                        // 000000006914: D81A3A00 0000832E
	s_waitcnt lgkmcnt(0)                                       // 00000000691C: BF8CC07F
	s_barrier                                                  // 000000006920: BF8A0000
	v_and_b32_e32 v46, 31, v0                                  // 000000006924: 265C009F
	v_lshrrev_b32_e32 v46, 4, v46                              // 000000006928: 205C5C84
	v_lshlrev_b32_e32 v47, 5, v46                              // 00000000692C: 245E5C85
	v_lshrrev_b32_e32 v46, 5, v0                               // 000000006930: 205C0085
	v_lshlrev_b32_e32 v46, 7, v46                              // 000000006934: 245C5C87
	v_add_u32_e32 v47, v46, v47                                // 000000006938: 685E5F2E
	v_and_b32_e32 v46, 15, v0                                  // 00000000693C: 265C008F
	v_lshlrev_b32_e32 v46, 1, v46                              // 000000006940: 245C5C81
	v_add_u32_e32 v47, v46, v47                                // 000000006944: 685E5F2E
	v_lshlrev_b32_e32 v46, 2, v47                              // 000000006948: 245C5E82
	ds_read_b64 v[128:129], v46 offset:11776                   // 00000000694C: D8EC2E00 8000002E
	ds_read_b64 v[130:131], v46 offset:12032                   // 000000006954: D8EC2F00 8200002E
	ds_read_b64 v[132:133], v46 offset:12800                   // 00000000695C: D8EC3200 8400002E
	ds_read_b64 v[134:135], v46 offset:13056                   // 000000006964: D8EC3300 8600002E
	ds_read_b64 v[136:137], v46 offset:13824                   // 00000000696C: D8EC3600 8800002E
	ds_read_b64 v[138:139], v46 offset:14080                   // 000000006974: D8EC3700 8A00002E
	ds_read_b64 v[140:141], v46 offset:14848                   // 00000000697C: D8EC3A00 8C00002E
	ds_read_b64 v[142:143], v46 offset:15104                   // 000000006984: D8EC3B00 8E00002E
	s_waitcnt lgkmcnt(0)                                       // 00000000698C: BF8CC07F
	s_barrier                                                  // 000000006990: BF8A0000
	v_mov_b32_e32 v160, 0                                      // 000000006994: 7F400280
	v_mov_b32_e32 v176, 0                                      // 000000006998: 7F600280
	v_mov_b32_e32 v161, 0                                      // 00000000699C: 7F420280
	v_mov_b32_e32 v177, 0                                      // 0000000069A0: 7F620280
	v_mov_b32_e32 v162, 0                                      // 0000000069A4: 7F440280
	v_mov_b32_e32 v178, 0                                      // 0000000069A8: 7F640280
	v_mov_b32_e32 v163, 0                                      // 0000000069AC: 7F460280
	v_mov_b32_e32 v179, 0                                      // 0000000069B0: 7F660280
	v_mov_b32_e32 v164, 0                                      // 0000000069B4: 7F480280
	v_mov_b32_e32 v180, 0                                      // 0000000069B8: 7F680280
	v_mov_b32_e32 v165, 0                                      // 0000000069BC: 7F4A0280
	v_mov_b32_e32 v181, 0                                      // 0000000069C0: 7F6A0280
	v_mov_b32_e32 v166, 0                                      // 0000000069C4: 7F4C0280
	v_mov_b32_e32 v182, 0                                      // 0000000069C8: 7F6C0280
	v_mov_b32_e32 v167, 0                                      // 0000000069CC: 7F4E0280
	v_mov_b32_e32 v183, 0                                      // 0000000069D0: 7F6E0280
	v_mov_b32_e32 v168, 0                                      // 0000000069D4: 7F500280
	v_mov_b32_e32 v184, 0                                      // 0000000069D8: 7F700280
	v_mov_b32_e32 v169, 0                                      // 0000000069DC: 7F520280
	v_mov_b32_e32 v185, 0                                      // 0000000069E0: 7F720280
	v_mov_b32_e32 v170, 0                                      // 0000000069E4: 7F540280
	v_mov_b32_e32 v186, 0                                      // 0000000069E8: 7F740280
	v_mov_b32_e32 v171, 0                                      // 0000000069EC: 7F560280
	v_mov_b32_e32 v187, 0                                      // 0000000069F0: 7F760280
	v_mov_b32_e32 v172, 0                                      // 0000000069F4: 7F580280
	v_mov_b32_e32 v188, 0                                      // 0000000069F8: 7F780280
	v_mov_b32_e32 v173, 0                                      // 0000000069FC: 7F5A0280
	v_mov_b32_e32 v189, 0                                      // 000000006A00: 7F7A0280
	v_mov_b32_e32 v174, 0                                      // 000000006A04: 7F5C0280
	v_mov_b32_e32 v190, 0                                      // 000000006A08: 7F7C0280
	v_mov_b32_e32 v175, 0                                      // 000000006A0C: 7F5E0280
	v_mov_b32_e32 v191, 0                                      // 000000006A10: 7F7E0280
	ds_write_b64 v4, v[160:161] offset:11776                   // 000000006A14: D89A2E00 0000A004
	ds_write_b64 v4, v[162:163] offset:13952                   // 000000006A1C: D89A3680 0000A204
	ds_write_b64 v4, v[164:165] offset:16128                   // 000000006A24: D89A3F00 0000A404
	ds_write_b64 v4, v[166:167] offset:18304                   // 000000006A2C: D89A4780 0000A604
	s_mov_b32 s80, 0                                           // 000000006A34: BED00080

0000000000006a38 <label_0F0E>:
	s_waitcnt vmcnt(29) lgkmcnt(0)                             // 000000006A38: BF8C407D
	s_barrier                                                  // 000000006A3C: BF8A0000
	v_mfma_f32_16x16x128_f8f6f4 v[160:163], a[0:7], v[128:135], 0// 000000006A40: D3AD00A0 0A030100
	buffer_load_dword v21, v6, s[16:19], 0 offen               // 000000006A48: E0501000 80041506
	buffer_load_dwordx4 a[128:131], v37, s[12:15], 0 offen     // 000000006A50: E05C1000 80838025
	buffer_load_dwordx4 a[132:135], v37, s[12:15], 0 offen offset:1024// 000000006A58: E05C1400 80838425
	buffer_load_dwordx4 a[136:139], v38, s[12:15], 0 offen     // 000000006A60: E05C1000 80838826
	buffer_load_dwordx4 a[140:143], v38, s[12:15], 0 offen offset:1024// 000000006A68: E05C1400 80838C26
	v_mfma_f32_16x16x128_f8f6f4 v[164:167], a[8:15], v[128:135], 0// 000000006A70: D3AD00A4 0A030108
	ds_read_b32 v64, v5 offset:11776                           // 000000006A78: D86C2E00 40000005
	ds_read_b32 v65, v5 offset:16128                           // 000000006A80: D86C3F00 41000005
	ds_read_b32 v66, v5 offset:11784                           // 000000006A88: D86C2E08 42000005
	ds_read_b32 v67, v5 offset:16136                           // 000000006A90: D86C3F08 43000005
	ds_read_b32 v68, v5 offset:11808                           // 000000006A98: D86C2E20 44000005
	ds_read_b32 v69, v5 offset:16160                           // 000000006AA0: D86C3F20 45000005
	ds_read_b32 v70, v5 offset:11816                           // 000000006AA8: D86C2E28 46000005
	ds_read_b32 v71, v5 offset:16168                           // 000000006AB0: D86C3F28 47000005
	s_waitcnt vmcnt(29)                                        // 000000006AB8: BF8C4F7D
	v_mfma_f32_16x16x128_f8f6f4 v[168:171], a[16:23], v[128:135], 0// 000000006ABC: D3AD00A8 0A030110
	buffer_load_dwordx4 a[144:147], v39, s[12:15], 0 offen     // 000000006AC4: E05C1000 80839027
	buffer_load_dwordx4 a[148:151], v39, s[12:15], 0 offen offset:1024// 000000006ACC: E05C1400 80839427
	buffer_load_dwordx4 a[152:155], v40, s[12:15], 0 offen     // 000000006AD4: E05C1000 80839828
	buffer_load_dwordx4 a[156:159], v40, s[12:15], 0 offen offset:1024// 000000006ADC: E05C1400 80839C28
	s_add_u32 s12, s78, s12                                    // 000000006AE4: 800C0C4E
	s_addc_u32 s13, 0, s13                                     // 000000006AE8: 820D0D80
	v_mfma_f32_16x16x128_f8f6f4 v[172:175], a[24:31], v[128:135], 0// 000000006AEC: D3AD00AC 0A030118
	v_mul_f32_dpp v46, v19, v28 row_newbcast:0 row_mask:0xf bank_mask:0xf// 000000006AF4: 0A5C38FA FF015013
	v_mov_b32_e32 v47, v46                                     // 000000006AFC: 7E5E032E
	v_pk_mul_f32 v[160:161], v[46:47], v[160:161]              // 000000006B00: D3B140A0 1803412E
	v_pk_mul_f32 v[162:163], v[46:47], v[162:163]              // 000000006B08: D3B140A2 1803452E
	v_pk_mul_f32 v[164:165], v[46:47], v[164:165]              // 000000006B10: D3B140A4 1803492E
	v_pk_mul_f32 v[166:167], v[46:47], v[166:167]              // 000000006B18: D3B140A6 18034D2E
	v_mul_f32_dpp v46, v19, v28 row_newbcast:1 row_mask:0xf bank_mask:0xf// 000000006B20: 0A5C38FA FF015113
	v_mov_b32_e32 v47, v46                                     // 000000006B28: 7E5E032E
	v_pk_mul_f32 v[168:169], v[46:47], v[168:169]              // 000000006B2C: D3B140A8 1803512E
	v_pk_mul_f32 v[170:171], v[46:47], v[170:171]              // 000000006B34: D3B140AA 1803552E
	v_pk_mul_f32 v[172:173], v[46:47], v[172:173]              // 000000006B3C: D3B140AC 1803592E
	v_pk_mul_f32 v[174:175], v[46:47], v[174:175]              // 000000006B44: D3B140AE 18035D2E
	s_waitcnt vmcnt(29)                                        // 000000006B4C: BF8C4F7D
	v_mfma_f32_16x16x128_f8f6f4 v[144:147], a[32:39], v[136:143], 0// 000000006B50: D3AD0090 0A031120
	buffer_load_dwordx4 a[160:163], v37, s[12:15], 0 offen     // 000000006B58: E05C1000 8083A025
	buffer_load_dwordx4 a[164:167], v37, s[12:15], 0 offen offset:1024// 000000006B60: E05C1400 8083A425
	buffer_load_dwordx4 a[168:171], v38, s[12:15], 0 offen     // 000000006B68: E05C1000 8083A826
	buffer_load_dwordx4 a[172:175], v38, s[12:15], 0 offen offset:1024// 000000006B70: E05C1400 8083AC26
	v_mfma_f32_16x16x128_f8f6f4 v[148:151], a[40:47], v[136:143], 0// 000000006B78: D3AD0094 0A031128
	ds_write_b64 v4, v[176:177] offset:29184                   // 000000006B80: D89A7200 0000B004
	ds_write_b64 v4, v[178:179] offset:31360                   // 000000006B88: D89A7A80 0000B204
	ds_write_b64 v4, v[180:181] offset:33536                   // 000000006B90: D89A8300 0000B404
	ds_write_b64 v4, v[182:183] offset:35712                   // 000000006B98: D89A8B80 0000B604
	s_waitcnt vmcnt(29)                                        // 000000006BA0: BF8C4F7D
	v_mfma_f32_16x16x128_f8f6f4 v[152:155], a[48:55], v[136:143], 0// 000000006BA4: D3AD0098 0A031130
	buffer_load_dwordx4 a[176:179], v39, s[12:15], 0 offen     // 000000006BAC: E05C1000 8083B027
	buffer_load_dwordx4 a[180:183], v39, s[12:15], 0 offen offset:1024// 000000006BB4: E05C1400 8083B427
	buffer_load_dwordx4 a[184:187], v40, s[12:15], 0 offen     // 000000006BBC: E05C1000 8083B828
	buffer_load_dwordx4 a[188:191], v40, s[12:15], 0 offen offset:1024// 000000006BC4: E05C1400 8083BC28
	v_mfma_f32_16x16x128_f8f6f4 v[156:159], a[56:63], v[136:143], 0// 000000006BCC: D3AD009C 0A031138
	v_mul_f32_dpp v46, v19, v29 row_newbcast:2 row_mask:0xf bank_mask:0xf// 000000006BD4: 0A5C3AFA FF015213
	v_mov_b32_e32 v47, v46                                     // 000000006BDC: 7E5E032E
	v_pk_fma_f32 v[160:161], v[144:145], v[46:47], v[160:161]  // 000000006BE0: D3B040A0 1E825D90
	v_pk_fma_f32 v[162:163], v[146:147], v[46:47], v[162:163]  // 000000006BE8: D3B040A2 1E8A5D92
	v_pk_fma_f32 v[164:165], v[148:149], v[46:47], v[164:165]  // 000000006BF0: D3B040A4 1E925D94
	v_pk_fma_f32 v[166:167], v[150:151], v[46:47], v[166:167]  // 000000006BF8: D3B040A6 1E9A5D96
	v_mul_f32_dpp v46, v19, v29 row_newbcast:3 row_mask:0xf bank_mask:0xf// 000000006C00: 0A5C3AFA FF015313
	v_mov_b32_e32 v47, v46                                     // 000000006C08: 7E5E032E
	v_pk_fma_f32 v[168:169], v[152:153], v[46:47], v[168:169]  // 000000006C0C: D3B040A8 1EA25D98
	v_pk_fma_f32 v[170:171], v[154:155], v[46:47], v[170:171]  // 000000006C14: D3B040AA 1EAA5D9A
	v_pk_fma_f32 v[172:173], v[156:157], v[46:47], v[172:173]  // 000000006C1C: D3B040AC 1EB25D9C
	v_pk_fma_f32 v[174:175], v[158:159], v[46:47], v[174:175]  // 000000006C24: D3B040AE 1EBA5D9E
	s_add_u32 s60, 0x300, s80                                  // 000000006C2C: 803C50FF 00000300
	s_cmp_lt_u32 s60, s81                                      // 000000006C34: BF0A513C
	s_cselect_b32 s56, s56, 0                                  // 000000006C38: 85388038
	s_cselect_b32 s78, s78, 0                                  // 000000006C3C: 854E804E
	s_cselect_b32 s79, s79, 0                                  // 000000006C40: 854F804F
	s_add_u32 s12, s56, s12                                    // 000000006C44: 800C0C38
	s_addc_u32 s13, 0, s13                                     // 000000006C48: 820D0D80
	s_add_u32 s16, s79, s16                                    // 000000006C4C: 8010104F
	s_addc_u32 s17, 0, s17                                     // 000000006C50: 82111180
	v_mov_b32_e32 v46, v23                                     // 000000006C54: 7E5C0317
	v_mov_b32_e32 v47, v23                                     // 000000006C58: 7E5E0317
	v_pk_mul_f32 v[160:161], v[46:47], v[160:161]              // 000000006C5C: D3B140A0 1803412E
	v_pk_mul_f32 v[162:163], v[46:47], v[162:163]              // 000000006C64: D3B140A2 1803452E
	v_pk_mul_f32 v[164:165], v[46:47], v[164:165]              // 000000006C6C: D3B140A4 1803492E
	v_pk_mul_f32 v[166:167], v[46:47], v[166:167]              // 000000006C74: D3B140A6 18034D2E
	v_pk_mul_f32 v[168:169], v[46:47], v[168:169]              // 000000006C7C: D3B140A8 1803512E
	v_pk_mul_f32 v[170:171], v[46:47], v[170:171]              // 000000006C84: D3B140AA 1803552E
	v_pk_mul_f32 v[172:173], v[46:47], v[172:173]              // 000000006C8C: D3B140AC 1803592E
	v_pk_mul_f32 v[174:175], v[46:47], v[174:175]              // 000000006C94: D3B140AE 18035D2E
	v_cvt_pk_bf16_f32 v160, v160, v161                         // 000000006C9C: D26800A0 000343A0
	v_cvt_pk_bf16_f32 v161, v162, v163                         // 000000006CA4: D26800A1 000347A2
	v_cvt_pk_bf16_f32 v162, v164, v165                         // 000000006CAC: D26800A2 00034BA4
	v_cvt_pk_bf16_f32 v163, v166, v167                         // 000000006CB4: D26800A3 00034FA6
	v_cvt_pk_bf16_f32 v164, v168, v169                         // 000000006CBC: D26800A4 000353A8
	v_cvt_pk_bf16_f32 v165, v170, v171                         // 000000006CC4: D26800A5 000357AA
	v_cvt_pk_bf16_f32 v166, v172, v173                         // 000000006CCC: D26800A6 00035BAC
	v_cvt_pk_bf16_f32 v167, v174, v175                         // 000000006CD4: D26800A7 00035FAE
	s_cmp_ge_u32 s80, 0x200                                    // 000000006CDC: BF09FF50 00000200
	s_cselect_b32 s59, 0x200, s59                              // 000000006CE4: 853B3BFF 00000200
	s_waitcnt lgkmcnt(0)                                       // 000000006CEC: BF8CC07F
	s_barrier                                                  // 000000006CF0: BF8A0000
	s_setvskip s20, 0                                          // 000000006CF4: BF108014
	global_atomic_pk_add_bf16 v80, v64, s[8:9]                 // 000000006CF8: DD488000 00084050
	s_setvskip 0, 0                                            // 000000006D00: BF108080
	s_setvskip s20, 0                                          // 000000006D04: BF108014
	global_atomic_pk_add_bf16 v80, v65, s[8:9] offset:256      // 000000006D08: DD488100 00084150
	s_setvskip 0, 0                                            // 000000006D10: BF108080
	s_setvskip s20, 1                                          // 000000006D14: BF108114
	global_atomic_pk_add_bf16 v82, v66, s[8:9]                 // 000000006D18: DD488000 00084252
	s_setvskip 0, 0                                            // 000000006D20: BF108080
	s_setvskip s20, 1                                          // 000000006D24: BF108114
	global_atomic_pk_add_bf16 v82, v67, s[8:9] offset:256      // 000000006D28: DD488100 00084352
	s_setvskip 0, 0                                            // 000000006D30: BF108080
	s_setvskip s20, 2                                          // 000000006D34: BF108214
	global_atomic_pk_add_bf16 v84, v68, s[8:9]                 // 000000006D38: DD488000 00084454
	s_setvskip 0, 0                                            // 000000006D40: BF108080
	s_setvskip s20, 2                                          // 000000006D44: BF108214
	global_atomic_pk_add_bf16 v84, v69, s[8:9] offset:256      // 000000006D48: DD488100 00084554
	s_setvskip 0, 0                                            // 000000006D50: BF108080
	s_setvskip s20, 3                                          // 000000006D54: BF108314
	global_atomic_pk_add_bf16 v86, v70, s[8:9]                 // 000000006D58: DD488000 00084656
	s_setvskip 0, 0                                            // 000000006D60: BF108080
	s_setvskip s20, 3                                          // 000000006D64: BF108314
	global_atomic_pk_add_bf16 v86, v71, s[8:9] offset:256      // 000000006D68: DD488100 00084756
	s_setvskip 0, 0                                            // 000000006D70: BF108080
	s_add_u32 s8, s59, s8                                      // 000000006D74: 8008083B
	s_addc_u32 s9, 0, s9                                       // 000000006D78: 82090980
	s_addk_i32 s80, 0x100                                      // 000000006D7C: B7500100
	s_cmp_lt_i32 s80, s81                                      // 000000006D80: BF045150
	s_cbranch_scc0 label_0B3D                                  // 000000006D84: BF84FB5B
	s_waitcnt vmcnt(29) lgkmcnt(0)                             // 000000006D88: BF8C407D
	s_barrier                                                  // 000000006D8C: BF8A0000
	v_mfma_f32_16x16x128_f8f6f4 v[176:179], a[64:71], v[128:135], 0// 000000006D90: D3AD00B0 0A030140
	buffer_load_dword v19, v6, s[16:19], 0 offen               // 000000006D98: E0501000 80041306
	buffer_load_dwordx4 a[0:3], v37, s[12:15], 0 offen         // 000000006DA0: E05C1000 80830025
	buffer_load_dwordx4 a[4:7], v37, s[12:15], 0 offen offset:1024// 000000006DA8: E05C1400 80830425
	buffer_load_dwordx4 a[8:11], v38, s[12:15], 0 offen        // 000000006DB0: E05C1000 80830826
	buffer_load_dwordx4 a[12:15], v38, s[12:15], 0 offen offset:1024// 000000006DB8: E05C1400 80830C26
	v_mfma_f32_16x16x128_f8f6f4 v[180:183], a[72:79], v[128:135], 0// 000000006DC0: D3AD00B4 0A030148
	ds_read_b32 v64, v5 offset:29184                           // 000000006DC8: D86C7200 40000005
	ds_read_b32 v65, v5 offset:33536                           // 000000006DD0: D86C8300 41000005
	ds_read_b32 v66, v5 offset:29192                           // 000000006DD8: D86C7208 42000005
	ds_read_b32 v67, v5 offset:33544                           // 000000006DE0: D86C8308 43000005
	ds_read_b32 v68, v5 offset:29216                           // 000000006DE8: D86C7220 44000005
	ds_read_b32 v69, v5 offset:33568                           // 000000006DF0: D86C8320 45000005
	ds_read_b32 v70, v5 offset:29224                           // 000000006DF8: D86C7228 46000005
	ds_read_b32 v71, v5 offset:33576                           // 000000006E00: D86C8328 47000005
	s_waitcnt vmcnt(29)                                        // 000000006E08: BF8C4F7D
	v_mfma_f32_16x16x128_f8f6f4 v[184:187], a[80:87], v[128:135], 0// 000000006E0C: D3AD00B8 0A030150
	buffer_load_dwordx4 a[16:19], v39, s[12:15], 0 offen       // 000000006E14: E05C1000 80831027
	buffer_load_dwordx4 a[20:23], v39, s[12:15], 0 offen offset:1024// 000000006E1C: E05C1400 80831427
	buffer_load_dwordx4 a[24:27], v40, s[12:15], 0 offen       // 000000006E24: E05C1000 80831828
	buffer_load_dwordx4 a[28:31], v40, s[12:15], 0 offen offset:1024// 000000006E2C: E05C1400 80831C28
	s_add_u32 s12, s78, s12                                    // 000000006E34: 800C0C4E
	s_addc_u32 s13, 0, s13                                     // 000000006E38: 820D0D80
	v_mfma_f32_16x16x128_f8f6f4 v[188:191], a[88:95], v[128:135], 0// 000000006E3C: D3AD00BC 0A030158
	v_mul_f32_dpp v46, v20, v28 row_newbcast:0 row_mask:0xf bank_mask:0xf// 000000006E44: 0A5C38FA FF015014
	v_mov_b32_e32 v47, v46                                     // 000000006E4C: 7E5E032E
	v_pk_mul_f32 v[176:177], v[46:47], v[176:177]              // 000000006E50: D3B140B0 1803612E
	v_pk_mul_f32 v[178:179], v[46:47], v[178:179]              // 000000006E58: D3B140B2 1803652E
	v_pk_mul_f32 v[180:181], v[46:47], v[180:181]              // 000000006E60: D3B140B4 1803692E
	v_pk_mul_f32 v[182:183], v[46:47], v[182:183]              // 000000006E68: D3B140B6 18036D2E
	v_mul_f32_dpp v46, v20, v28 row_newbcast:1 row_mask:0xf bank_mask:0xf// 000000006E70: 0A5C38FA FF015114
	v_mov_b32_e32 v47, v46                                     // 000000006E78: 7E5E032E
	v_pk_mul_f32 v[184:185], v[46:47], v[184:185]              // 000000006E7C: D3B140B8 1803712E
	v_pk_mul_f32 v[186:187], v[46:47], v[186:187]              // 000000006E84: D3B140BA 1803752E
	v_pk_mul_f32 v[188:189], v[46:47], v[188:189]              // 000000006E8C: D3B140BC 1803792E
	v_pk_mul_f32 v[190:191], v[46:47], v[190:191]              // 000000006E94: D3B140BE 18037D2E
	s_waitcnt vmcnt(29)                                        // 000000006E9C: BF8C4F7D
	v_mfma_f32_16x16x128_f8f6f4 v[144:147], a[96:103], v[136:143], 0// 000000006EA0: D3AD0090 0A031160
	buffer_load_dwordx4 a[32:35], v37, s[12:15], 0 offen       // 000000006EA8: E05C1000 80832025
	buffer_load_dwordx4 a[36:39], v37, s[12:15], 0 offen offset:1024// 000000006EB0: E05C1400 80832425
	buffer_load_dwordx4 a[40:43], v38, s[12:15], 0 offen       // 000000006EB8: E05C1000 80832826
	buffer_load_dwordx4 a[44:47], v38, s[12:15], 0 offen offset:1024// 000000006EC0: E05C1400 80832C26
	v_mfma_f32_16x16x128_f8f6f4 v[148:151], a[104:111], v[136:143], 0// 000000006EC8: D3AD0094 0A031168
	ds_write_b64 v4, v[160:161] offset:11776                   // 000000006ED0: D89A2E00 0000A004
	ds_write_b64 v4, v[162:163] offset:13952                   // 000000006ED8: D89A3680 0000A204
	ds_write_b64 v4, v[164:165] offset:16128                   // 000000006EE0: D89A3F00 0000A404
	ds_write_b64 v4, v[166:167] offset:18304                   // 000000006EE8: D89A4780 0000A604
	s_waitcnt vmcnt(29)                                        // 000000006EF0: BF8C4F7D
	v_mfma_f32_16x16x128_f8f6f4 v[152:155], a[112:119], v[136:143], 0// 000000006EF4: D3AD0098 0A031170
	buffer_load_dwordx4 a[48:51], v39, s[12:15], 0 offen       // 000000006EFC: E05C1000 80833027
	buffer_load_dwordx4 a[52:55], v39, s[12:15], 0 offen offset:1024// 000000006F04: E05C1400 80833427
	buffer_load_dwordx4 a[56:59], v40, s[12:15], 0 offen       // 000000006F0C: E05C1000 80833828
	buffer_load_dwordx4 a[60:63], v40, s[12:15], 0 offen offset:1024// 000000006F14: E05C1400 80833C28
	v_mfma_f32_16x16x128_f8f6f4 v[156:159], a[120:127], v[136:143], 0// 000000006F1C: D3AD009C 0A031178
	v_mul_f32_dpp v46, v20, v29 row_newbcast:2 row_mask:0xf bank_mask:0xf// 000000006F24: 0A5C3AFA FF015214
	v_mov_b32_e32 v47, v46                                     // 000000006F2C: 7E5E032E
	v_pk_fma_f32 v[176:177], v[144:145], v[46:47], v[176:177]  // 000000006F30: D3B040B0 1EC25D90
	v_pk_fma_f32 v[178:179], v[146:147], v[46:47], v[178:179]  // 000000006F38: D3B040B2 1ECA5D92
	v_pk_fma_f32 v[180:181], v[148:149], v[46:47], v[180:181]  // 000000006F40: D3B040B4 1ED25D94
	v_pk_fma_f32 v[182:183], v[150:151], v[46:47], v[182:183]  // 000000006F48: D3B040B6 1EDA5D96
	v_mul_f32_dpp v46, v20, v29 row_newbcast:3 row_mask:0xf bank_mask:0xf// 000000006F50: 0A5C3AFA FF015314
	v_mov_b32_e32 v47, v46                                     // 000000006F58: 7E5E032E
	v_pk_fma_f32 v[184:185], v[152:153], v[46:47], v[184:185]  // 000000006F5C: D3B040B8 1EE25D98
	v_pk_fma_f32 v[186:187], v[154:155], v[46:47], v[186:187]  // 000000006F64: D3B040BA 1EEA5D9A
	v_pk_fma_f32 v[188:189], v[156:157], v[46:47], v[188:189]  // 000000006F6C: D3B040BC 1EF25D9C
	v_pk_fma_f32 v[190:191], v[158:159], v[46:47], v[190:191]  // 000000006F74: D3B040BE 1EFA5D9E
	s_add_u32 s60, 0x300, s80                                  // 000000006F7C: 803C50FF 00000300
	s_cmp_lt_u32 s60, s81                                      // 000000006F84: BF0A513C
	s_cselect_b32 s56, s56, 0                                  // 000000006F88: 85388038
	s_cselect_b32 s78, s78, 0                                  // 000000006F8C: 854E804E
	s_cselect_b32 s79, s79, 0                                  // 000000006F90: 854F804F
	s_add_u32 s12, s56, s12                                    // 000000006F94: 800C0C38
	s_addc_u32 s13, 0, s13                                     // 000000006F98: 820D0D80
	s_add_u32 s16, s79, s16                                    // 000000006F9C: 8010104F
	s_addc_u32 s17, 0, s17                                     // 000000006FA0: 82111180
	v_mov_b32_e32 v46, v23                                     // 000000006FA4: 7E5C0317
	v_mov_b32_e32 v47, v23                                     // 000000006FA8: 7E5E0317
	v_pk_mul_f32 v[176:177], v[46:47], v[176:177]              // 000000006FAC: D3B140B0 1803612E
	v_pk_mul_f32 v[178:179], v[46:47], v[178:179]              // 000000006FB4: D3B140B2 1803652E
	v_pk_mul_f32 v[180:181], v[46:47], v[180:181]              // 000000006FBC: D3B140B4 1803692E
	v_pk_mul_f32 v[182:183], v[46:47], v[182:183]              // 000000006FC4: D3B140B6 18036D2E
	v_pk_mul_f32 v[184:185], v[46:47], v[184:185]              // 000000006FCC: D3B140B8 1803712E
	v_pk_mul_f32 v[186:187], v[46:47], v[186:187]              // 000000006FD4: D3B140BA 1803752E
	v_pk_mul_f32 v[188:189], v[46:47], v[188:189]              // 000000006FDC: D3B140BC 1803792E
	v_pk_mul_f32 v[190:191], v[46:47], v[190:191]              // 000000006FE4: D3B140BE 18037D2E
	v_cvt_pk_bf16_f32 v176, v176, v177                         // 000000006FEC: D26800B0 000363B0
	v_cvt_pk_bf16_f32 v177, v178, v179                         // 000000006FF4: D26800B1 000367B2
	v_cvt_pk_bf16_f32 v178, v180, v181                         // 000000006FFC: D26800B2 00036BB4
	v_cvt_pk_bf16_f32 v179, v182, v183                         // 000000007004: D26800B3 00036FB6
	v_cvt_pk_bf16_f32 v180, v184, v185                         // 00000000700C: D26800B4 000373B8
	v_cvt_pk_bf16_f32 v181, v186, v187                         // 000000007014: D26800B5 000377BA
	v_cvt_pk_bf16_f32 v182, v188, v189                         // 00000000701C: D26800B6 00037BBC
	v_cvt_pk_bf16_f32 v183, v190, v191                         // 000000007024: D26800B7 00037FBE
	s_cmp_ge_u32 s80, 0x200                                    // 00000000702C: BF09FF50 00000200
	s_cselect_b32 s59, 0x200, s59                              // 000000007034: 853B3BFF 00000200
	s_waitcnt lgkmcnt(0)                                       // 00000000703C: BF8CC07F
	s_barrier                                                  // 000000007040: BF8A0000
	s_setvskip s20, 0                                          // 000000007044: BF108014
	global_atomic_pk_add_bf16 v80, v64, s[8:9]                 // 000000007048: DD488000 00084050
	s_setvskip 0, 0                                            // 000000007050: BF108080
	s_setvskip s20, 0                                          // 000000007054: BF108014
	global_atomic_pk_add_bf16 v80, v65, s[8:9] offset:256      // 000000007058: DD488100 00084150
	s_setvskip 0, 0                                            // 000000007060: BF108080
	s_setvskip s20, 1                                          // 000000007064: BF108114
	global_atomic_pk_add_bf16 v82, v66, s[8:9]                 // 000000007068: DD488000 00084252
	s_setvskip 0, 0                                            // 000000007070: BF108080
	s_setvskip s20, 1                                          // 000000007074: BF108114
	global_atomic_pk_add_bf16 v82, v67, s[8:9] offset:256      // 000000007078: DD488100 00084352
	s_setvskip 0, 0                                            // 000000007080: BF108080
	s_setvskip s20, 2                                          // 000000007084: BF108214
	global_atomic_pk_add_bf16 v84, v68, s[8:9]                 // 000000007088: DD488000 00084454
	s_setvskip 0, 0                                            // 000000007090: BF108080
	s_setvskip s20, 2                                          // 000000007094: BF108214
	global_atomic_pk_add_bf16 v84, v69, s[8:9] offset:256      // 000000007098: DD488100 00084554
	s_setvskip 0, 0                                            // 0000000070A0: BF108080
	s_setvskip s20, 3                                          // 0000000070A4: BF108314
	global_atomic_pk_add_bf16 v86, v70, s[8:9]                 // 0000000070A8: DD488000 00084656
	s_setvskip 0, 0                                            // 0000000070B0: BF108080
	s_setvskip s20, 3                                          // 0000000070B4: BF108314
	global_atomic_pk_add_bf16 v86, v71, s[8:9] offset:256      // 0000000070B8: DD488100 00084756
	s_setvskip 0, 0                                            // 0000000070C0: BF108080
	s_add_u32 s8, s59, s8                                      // 0000000070C4: 8008083B
	s_addc_u32 s9, 0, s9                                       // 0000000070C8: 82090980
	s_addk_i32 s80, 0x100                                      // 0000000070CC: B7500100
	s_cmp_lt_i32 s80, s81                                      // 0000000070D0: BF045150
	s_cbranch_scc0 label_0B3D                                  // 0000000070D4: BF84FA87
	s_waitcnt vmcnt(29) lgkmcnt(0)                             // 0000000070D8: BF8C407D
	s_barrier                                                  // 0000000070DC: BF8A0000
	v_mfma_f32_16x16x128_f8f6f4 v[160:163], a[128:135], v[128:135], 0// 0000000070E0: D3AD00A0 0A030180
	buffer_load_dword v20, v6, s[16:19], 0 offen               // 0000000070E8: E0501000 80041406
	buffer_load_dwordx4 a[64:67], v37, s[12:15], 0 offen       // 0000000070F0: E05C1000 80834025
	buffer_load_dwordx4 a[68:71], v37, s[12:15], 0 offen offset:1024// 0000000070F8: E05C1400 80834425
	buffer_load_dwordx4 a[72:75], v38, s[12:15], 0 offen       // 000000007100: E05C1000 80834826
	buffer_load_dwordx4 a[76:79], v38, s[12:15], 0 offen offset:1024// 000000007108: E05C1400 80834C26
	v_mfma_f32_16x16x128_f8f6f4 v[164:167], a[136:143], v[128:135], 0// 000000007110: D3AD00A4 0A030188
	ds_read_b32 v64, v5 offset:11776                           // 000000007118: D86C2E00 40000005
	ds_read_b32 v65, v5 offset:16128                           // 000000007120: D86C3F00 41000005
	ds_read_b32 v66, v5 offset:11784                           // 000000007128: D86C2E08 42000005
	ds_read_b32 v67, v5 offset:16136                           // 000000007130: D86C3F08 43000005
	ds_read_b32 v68, v5 offset:11808                           // 000000007138: D86C2E20 44000005
	ds_read_b32 v69, v5 offset:16160                           // 000000007140: D86C3F20 45000005
	ds_read_b32 v70, v5 offset:11816                           // 000000007148: D86C2E28 46000005
	ds_read_b32 v71, v5 offset:16168                           // 000000007150: D86C3F28 47000005
	s_waitcnt vmcnt(29)                                        // 000000007158: BF8C4F7D
	v_mfma_f32_16x16x128_f8f6f4 v[168:171], a[144:151], v[128:135], 0// 00000000715C: D3AD00A8 0A030190
	buffer_load_dwordx4 a[80:83], v39, s[12:15], 0 offen       // 000000007164: E05C1000 80835027
	buffer_load_dwordx4 a[84:87], v39, s[12:15], 0 offen offset:1024// 00000000716C: E05C1400 80835427
	buffer_load_dwordx4 a[88:91], v40, s[12:15], 0 offen       // 000000007174: E05C1000 80835828
	buffer_load_dwordx4 a[92:95], v40, s[12:15], 0 offen offset:1024// 00000000717C: E05C1400 80835C28
	s_add_u32 s12, s78, s12                                    // 000000007184: 800C0C4E
	s_addc_u32 s13, 0, s13                                     // 000000007188: 820D0D80
	v_mfma_f32_16x16x128_f8f6f4 v[172:175], a[152:159], v[128:135], 0// 00000000718C: D3AD00AC 0A030198
	v_mul_f32_dpp v46, v21, v28 row_newbcast:0 row_mask:0xf bank_mask:0xf// 000000007194: 0A5C38FA FF015015
	v_mov_b32_e32 v47, v46                                     // 00000000719C: 7E5E032E
	v_pk_mul_f32 v[160:161], v[46:47], v[160:161]              // 0000000071A0: D3B140A0 1803412E
	v_pk_mul_f32 v[162:163], v[46:47], v[162:163]              // 0000000071A8: D3B140A2 1803452E
	v_pk_mul_f32 v[164:165], v[46:47], v[164:165]              // 0000000071B0: D3B140A4 1803492E
	v_pk_mul_f32 v[166:167], v[46:47], v[166:167]              // 0000000071B8: D3B140A6 18034D2E
	v_mul_f32_dpp v46, v21, v28 row_newbcast:1 row_mask:0xf bank_mask:0xf// 0000000071C0: 0A5C38FA FF015115
	v_mov_b32_e32 v47, v46                                     // 0000000071C8: 7E5E032E
	v_pk_mul_f32 v[168:169], v[46:47], v[168:169]              // 0000000071CC: D3B140A8 1803512E
	v_pk_mul_f32 v[170:171], v[46:47], v[170:171]              // 0000000071D4: D3B140AA 1803552E
	v_pk_mul_f32 v[172:173], v[46:47], v[172:173]              // 0000000071DC: D3B140AC 1803592E
	v_pk_mul_f32 v[174:175], v[46:47], v[174:175]              // 0000000071E4: D3B140AE 18035D2E
	s_waitcnt vmcnt(29)                                        // 0000000071EC: BF8C4F7D
	v_mfma_f32_16x16x128_f8f6f4 v[144:147], a[160:167], v[136:143], 0// 0000000071F0: D3AD0090 0A0311A0
	buffer_load_dwordx4 a[96:99], v37, s[12:15], 0 offen       // 0000000071F8: E05C1000 80836025
	buffer_load_dwordx4 a[100:103], v37, s[12:15], 0 offen offset:1024// 000000007200: E05C1400 80836425
	buffer_load_dwordx4 a[104:107], v38, s[12:15], 0 offen     // 000000007208: E05C1000 80836826
	buffer_load_dwordx4 a[108:111], v38, s[12:15], 0 offen offset:1024// 000000007210: E05C1400 80836C26
	v_mfma_f32_16x16x128_f8f6f4 v[148:151], a[168:175], v[136:143], 0// 000000007218: D3AD0094 0A0311A8
	ds_write_b64 v4, v[176:177] offset:29184                   // 000000007220: D89A7200 0000B004
	ds_write_b64 v4, v[178:179] offset:31360                   // 000000007228: D89A7A80 0000B204
	ds_write_b64 v4, v[180:181] offset:33536                   // 000000007230: D89A8300 0000B404
	ds_write_b64 v4, v[182:183] offset:35712                   // 000000007238: D89A8B80 0000B604
	s_waitcnt vmcnt(29)                                        // 000000007240: BF8C4F7D
	v_mfma_f32_16x16x128_f8f6f4 v[152:155], a[176:183], v[136:143], 0// 000000007244: D3AD0098 0A0311B0
	buffer_load_dwordx4 a[112:115], v39, s[12:15], 0 offen     // 00000000724C: E05C1000 80837027
	buffer_load_dwordx4 a[116:119], v39, s[12:15], 0 offen offset:1024// 000000007254: E05C1400 80837427
	buffer_load_dwordx4 a[120:123], v40, s[12:15], 0 offen     // 00000000725C: E05C1000 80837828
	buffer_load_dwordx4 a[124:127], v40, s[12:15], 0 offen offset:1024// 000000007264: E05C1400 80837C28
	v_mfma_f32_16x16x128_f8f6f4 v[156:159], a[184:191], v[136:143], 0// 00000000726C: D3AD009C 0A0311B8
	v_mul_f32_dpp v46, v21, v29 row_newbcast:2 row_mask:0xf bank_mask:0xf// 000000007274: 0A5C3AFA FF015215
	v_mov_b32_e32 v47, v46                                     // 00000000727C: 7E5E032E
	v_pk_fma_f32 v[160:161], v[144:145], v[46:47], v[160:161]  // 000000007280: D3B040A0 1E825D90
	v_pk_fma_f32 v[162:163], v[146:147], v[46:47], v[162:163]  // 000000007288: D3B040A2 1E8A5D92
	v_pk_fma_f32 v[164:165], v[148:149], v[46:47], v[164:165]  // 000000007290: D3B040A4 1E925D94
	v_pk_fma_f32 v[166:167], v[150:151], v[46:47], v[166:167]  // 000000007298: D3B040A6 1E9A5D96
	v_mul_f32_dpp v46, v21, v29 row_newbcast:3 row_mask:0xf bank_mask:0xf// 0000000072A0: 0A5C3AFA FF015315
	v_mov_b32_e32 v47, v46                                     // 0000000072A8: 7E5E032E
	v_pk_fma_f32 v[168:169], v[152:153], v[46:47], v[168:169]  // 0000000072AC: D3B040A8 1EA25D98
	v_pk_fma_f32 v[170:171], v[154:155], v[46:47], v[170:171]  // 0000000072B4: D3B040AA 1EAA5D9A
	v_pk_fma_f32 v[172:173], v[156:157], v[46:47], v[172:173]  // 0000000072BC: D3B040AC 1EB25D9C
	v_pk_fma_f32 v[174:175], v[158:159], v[46:47], v[174:175]  // 0000000072C4: D3B040AE 1EBA5D9E
	s_add_u32 s60, 0x300, s80                                  // 0000000072CC: 803C50FF 00000300
	s_cmp_lt_u32 s60, s81                                      // 0000000072D4: BF0A513C
	s_cselect_b32 s56, s56, 0                                  // 0000000072D8: 85388038
	s_cselect_b32 s78, s78, 0                                  // 0000000072DC: 854E804E
	s_cselect_b32 s79, s79, 0                                  // 0000000072E0: 854F804F
	s_add_u32 s12, s56, s12                                    // 0000000072E4: 800C0C38
	s_addc_u32 s13, 0, s13                                     // 0000000072E8: 820D0D80
	s_add_u32 s16, s79, s16                                    // 0000000072EC: 8010104F
	s_addc_u32 s17, 0, s17                                     // 0000000072F0: 82111180
	v_mov_b32_e32 v46, v23                                     // 0000000072F4: 7E5C0317
	v_mov_b32_e32 v47, v23                                     // 0000000072F8: 7E5E0317
	v_pk_mul_f32 v[160:161], v[46:47], v[160:161]              // 0000000072FC: D3B140A0 1803412E
	v_pk_mul_f32 v[162:163], v[46:47], v[162:163]              // 000000007304: D3B140A2 1803452E
	v_pk_mul_f32 v[164:165], v[46:47], v[164:165]              // 00000000730C: D3B140A4 1803492E
	v_pk_mul_f32 v[166:167], v[46:47], v[166:167]              // 000000007314: D3B140A6 18034D2E
	v_pk_mul_f32 v[168:169], v[46:47], v[168:169]              // 00000000731C: D3B140A8 1803512E
	v_pk_mul_f32 v[170:171], v[46:47], v[170:171]              // 000000007324: D3B140AA 1803552E
	v_pk_mul_f32 v[172:173], v[46:47], v[172:173]              // 00000000732C: D3B140AC 1803592E
	v_pk_mul_f32 v[174:175], v[46:47], v[174:175]              // 000000007334: D3B140AE 18035D2E
	v_cvt_pk_bf16_f32 v160, v160, v161                         // 00000000733C: D26800A0 000343A0
	v_cvt_pk_bf16_f32 v161, v162, v163                         // 000000007344: D26800A1 000347A2
	v_cvt_pk_bf16_f32 v162, v164, v165                         // 00000000734C: D26800A2 00034BA4
	v_cvt_pk_bf16_f32 v163, v166, v167                         // 000000007354: D26800A3 00034FA6
	v_cvt_pk_bf16_f32 v164, v168, v169                         // 00000000735C: D26800A4 000353A8
	v_cvt_pk_bf16_f32 v165, v170, v171                         // 000000007364: D26800A5 000357AA
	v_cvt_pk_bf16_f32 v166, v172, v173                         // 00000000736C: D26800A6 00035BAC
	v_cvt_pk_bf16_f32 v167, v174, v175                         // 000000007374: D26800A7 00035FAE
	s_cmp_ge_u32 s80, 0x200                                    // 00000000737C: BF09FF50 00000200
	s_cselect_b32 s59, 0x200, s59                              // 000000007384: 853B3BFF 00000200
	s_waitcnt lgkmcnt(0)                                       // 00000000738C: BF8CC07F
	s_barrier                                                  // 000000007390: BF8A0000
	s_setvskip s20, 0                                          // 000000007394: BF108014
	global_atomic_pk_add_bf16 v80, v64, s[8:9]                 // 000000007398: DD488000 00084050
	s_setvskip 0, 0                                            // 0000000073A0: BF108080
	s_setvskip s20, 0                                          // 0000000073A4: BF108014
	global_atomic_pk_add_bf16 v80, v65, s[8:9] offset:256      // 0000000073A8: DD488100 00084150
	s_setvskip 0, 0                                            // 0000000073B0: BF108080
	s_setvskip s20, 1                                          // 0000000073B4: BF108114
	global_atomic_pk_add_bf16 v82, v66, s[8:9]                 // 0000000073B8: DD488000 00084252
	s_setvskip 0, 0                                            // 0000000073C0: BF108080
	s_setvskip s20, 1                                          // 0000000073C4: BF108114
	global_atomic_pk_add_bf16 v82, v67, s[8:9] offset:256      // 0000000073C8: DD488100 00084352
	s_setvskip 0, 0                                            // 0000000073D0: BF108080
	s_setvskip s20, 2                                          // 0000000073D4: BF108214
	global_atomic_pk_add_bf16 v84, v68, s[8:9]                 // 0000000073D8: DD488000 00084454
	s_setvskip 0, 0                                            // 0000000073E0: BF108080
	s_setvskip s20, 2                                          // 0000000073E4: BF108214
	global_atomic_pk_add_bf16 v84, v69, s[8:9] offset:256      // 0000000073E8: DD488100 00084554
	s_setvskip 0, 0                                            // 0000000073F0: BF108080
	s_setvskip s20, 3                                          // 0000000073F4: BF108314
	global_atomic_pk_add_bf16 v86, v70, s[8:9]                 // 0000000073F8: DD488000 00084656
	s_setvskip 0, 0                                            // 000000007400: BF108080
	s_setvskip s20, 3                                          // 000000007404: BF108314
	global_atomic_pk_add_bf16 v86, v71, s[8:9] offset:256      // 000000007408: DD488100 00084756
	s_setvskip 0, 0                                            // 000000007410: BF108080
	s_add_u32 s8, s59, s8                                      // 000000007414: 8008083B
	s_addc_u32 s9, 0, s9                                       // 000000007418: 82090980
	s_addk_i32 s80, 0x100                                      // 00000000741C: B7500100
	s_cmp_lt_i32 s80, s81                                      // 000000007420: BF045150
	s_cbranch_scc0 label_0B3D                                  // 000000007424: BF84F9B3
	s_waitcnt vmcnt(29) lgkmcnt(0)                             // 000000007428: BF8C407D
	s_barrier                                                  // 00000000742C: BF8A0000
	v_mfma_f32_16x16x128_f8f6f4 v[176:179], a[0:7], v[128:135], 0// 000000007430: D3AD00B0 0A030100
	buffer_load_dword v21, v6, s[16:19], 0 offen               // 000000007438: E0501000 80041506
	buffer_load_dwordx4 a[128:131], v37, s[12:15], 0 offen     // 000000007440: E05C1000 80838025
	buffer_load_dwordx4 a[132:135], v37, s[12:15], 0 offen offset:1024// 000000007448: E05C1400 80838425
	buffer_load_dwordx4 a[136:139], v38, s[12:15], 0 offen     // 000000007450: E05C1000 80838826
	buffer_load_dwordx4 a[140:143], v38, s[12:15], 0 offen offset:1024// 000000007458: E05C1400 80838C26
	v_mfma_f32_16x16x128_f8f6f4 v[180:183], a[8:15], v[128:135], 0// 000000007460: D3AD00B4 0A030108
	ds_read_b32 v64, v5 offset:29184                           // 000000007468: D86C7200 40000005
	ds_read_b32 v65, v5 offset:33536                           // 000000007470: D86C8300 41000005
	ds_read_b32 v66, v5 offset:29192                           // 000000007478: D86C7208 42000005
	ds_read_b32 v67, v5 offset:33544                           // 000000007480: D86C8308 43000005
	ds_read_b32 v68, v5 offset:29216                           // 000000007488: D86C7220 44000005
	ds_read_b32 v69, v5 offset:33568                           // 000000007490: D86C8320 45000005
	ds_read_b32 v70, v5 offset:29224                           // 000000007498: D86C7228 46000005
	ds_read_b32 v71, v5 offset:33576                           // 0000000074A0: D86C8328 47000005
	s_waitcnt vmcnt(29)                                        // 0000000074A8: BF8C4F7D
	v_mfma_f32_16x16x128_f8f6f4 v[184:187], a[16:23], v[128:135], 0// 0000000074AC: D3AD00B8 0A030110
	buffer_load_dwordx4 a[144:147], v39, s[12:15], 0 offen     // 0000000074B4: E05C1000 80839027
	buffer_load_dwordx4 a[148:151], v39, s[12:15], 0 offen offset:1024// 0000000074BC: E05C1400 80839427
	buffer_load_dwordx4 a[152:155], v40, s[12:15], 0 offen     // 0000000074C4: E05C1000 80839828
	buffer_load_dwordx4 a[156:159], v40, s[12:15], 0 offen offset:1024// 0000000074CC: E05C1400 80839C28
	s_add_u32 s12, s78, s12                                    // 0000000074D4: 800C0C4E
	s_addc_u32 s13, 0, s13                                     // 0000000074D8: 820D0D80
	v_mfma_f32_16x16x128_f8f6f4 v[188:191], a[24:31], v[128:135], 0// 0000000074DC: D3AD00BC 0A030118
	v_mul_f32_dpp v46, v19, v28 row_newbcast:0 row_mask:0xf bank_mask:0xf// 0000000074E4: 0A5C38FA FF015013
	v_mov_b32_e32 v47, v46                                     // 0000000074EC: 7E5E032E
	v_pk_mul_f32 v[176:177], v[46:47], v[176:177]              // 0000000074F0: D3B140B0 1803612E
	v_pk_mul_f32 v[178:179], v[46:47], v[178:179]              // 0000000074F8: D3B140B2 1803652E
	v_pk_mul_f32 v[180:181], v[46:47], v[180:181]              // 000000007500: D3B140B4 1803692E
	v_pk_mul_f32 v[182:183], v[46:47], v[182:183]              // 000000007508: D3B140B6 18036D2E
	v_mul_f32_dpp v46, v19, v28 row_newbcast:1 row_mask:0xf bank_mask:0xf// 000000007510: 0A5C38FA FF015113
	v_mov_b32_e32 v47, v46                                     // 000000007518: 7E5E032E
	v_pk_mul_f32 v[184:185], v[46:47], v[184:185]              // 00000000751C: D3B140B8 1803712E
	v_pk_mul_f32 v[186:187], v[46:47], v[186:187]              // 000000007524: D3B140BA 1803752E
	v_pk_mul_f32 v[188:189], v[46:47], v[188:189]              // 00000000752C: D3B140BC 1803792E
	v_pk_mul_f32 v[190:191], v[46:47], v[190:191]              // 000000007534: D3B140BE 18037D2E
	s_waitcnt vmcnt(29)                                        // 00000000753C: BF8C4F7D
	v_mfma_f32_16x16x128_f8f6f4 v[144:147], a[32:39], v[136:143], 0// 000000007540: D3AD0090 0A031120
	buffer_load_dwordx4 a[160:163], v37, s[12:15], 0 offen     // 000000007548: E05C1000 8083A025
	buffer_load_dwordx4 a[164:167], v37, s[12:15], 0 offen offset:1024// 000000007550: E05C1400 8083A425
	buffer_load_dwordx4 a[168:171], v38, s[12:15], 0 offen     // 000000007558: E05C1000 8083A826
	buffer_load_dwordx4 a[172:175], v38, s[12:15], 0 offen offset:1024// 000000007560: E05C1400 8083AC26
	v_mfma_f32_16x16x128_f8f6f4 v[148:151], a[40:47], v[136:143], 0// 000000007568: D3AD0094 0A031128
	ds_write_b64 v4, v[160:161] offset:11776                   // 000000007570: D89A2E00 0000A004
	ds_write_b64 v4, v[162:163] offset:13952                   // 000000007578: D89A3680 0000A204
	ds_write_b64 v4, v[164:165] offset:16128                   // 000000007580: D89A3F00 0000A404
	ds_write_b64 v4, v[166:167] offset:18304                   // 000000007588: D89A4780 0000A604
	s_waitcnt vmcnt(29)                                        // 000000007590: BF8C4F7D
	v_mfma_f32_16x16x128_f8f6f4 v[152:155], a[48:55], v[136:143], 0// 000000007594: D3AD0098 0A031130
	buffer_load_dwordx4 a[176:179], v39, s[12:15], 0 offen     // 00000000759C: E05C1000 8083B027
	buffer_load_dwordx4 a[180:183], v39, s[12:15], 0 offen offset:1024// 0000000075A4: E05C1400 8083B427
	buffer_load_dwordx4 a[184:187], v40, s[12:15], 0 offen     // 0000000075AC: E05C1000 8083B828
	buffer_load_dwordx4 a[188:191], v40, s[12:15], 0 offen offset:1024// 0000000075B4: E05C1400 8083BC28
	v_mfma_f32_16x16x128_f8f6f4 v[156:159], a[56:63], v[136:143], 0// 0000000075BC: D3AD009C 0A031138
	v_mul_f32_dpp v46, v19, v29 row_newbcast:2 row_mask:0xf bank_mask:0xf// 0000000075C4: 0A5C3AFA FF015213
	v_mov_b32_e32 v47, v46                                     // 0000000075CC: 7E5E032E
	v_pk_fma_f32 v[176:177], v[144:145], v[46:47], v[176:177]  // 0000000075D0: D3B040B0 1EC25D90
	v_pk_fma_f32 v[178:179], v[146:147], v[46:47], v[178:179]  // 0000000075D8: D3B040B2 1ECA5D92
	v_pk_fma_f32 v[180:181], v[148:149], v[46:47], v[180:181]  // 0000000075E0: D3B040B4 1ED25D94
	v_pk_fma_f32 v[182:183], v[150:151], v[46:47], v[182:183]  // 0000000075E8: D3B040B6 1EDA5D96
	v_mul_f32_dpp v46, v19, v29 row_newbcast:3 row_mask:0xf bank_mask:0xf// 0000000075F0: 0A5C3AFA FF015313
	v_mov_b32_e32 v47, v46                                     // 0000000075F8: 7E5E032E
	v_pk_fma_f32 v[184:185], v[152:153], v[46:47], v[184:185]  // 0000000075FC: D3B040B8 1EE25D98
	v_pk_fma_f32 v[186:187], v[154:155], v[46:47], v[186:187]  // 000000007604: D3B040BA 1EEA5D9A
	v_pk_fma_f32 v[188:189], v[156:157], v[46:47], v[188:189]  // 00000000760C: D3B040BC 1EF25D9C
	v_pk_fma_f32 v[190:191], v[158:159], v[46:47], v[190:191]  // 000000007614: D3B040BE 1EFA5D9E
	s_add_u32 s60, 0x300, s80                                  // 00000000761C: 803C50FF 00000300
	s_cmp_lt_u32 s60, s81                                      // 000000007624: BF0A513C
	s_cselect_b32 s56, s56, 0                                  // 000000007628: 85388038
	s_cselect_b32 s78, s78, 0                                  // 00000000762C: 854E804E
	s_cselect_b32 s79, s79, 0                                  // 000000007630: 854F804F
	s_add_u32 s12, s56, s12                                    // 000000007634: 800C0C38
	s_addc_u32 s13, 0, s13                                     // 000000007638: 820D0D80
	s_add_u32 s16, s79, s16                                    // 00000000763C: 8010104F
	s_addc_u32 s17, 0, s17                                     // 000000007640: 82111180
	v_mov_b32_e32 v46, v23                                     // 000000007644: 7E5C0317
	v_mov_b32_e32 v47, v23                                     // 000000007648: 7E5E0317
	v_pk_mul_f32 v[176:177], v[46:47], v[176:177]              // 00000000764C: D3B140B0 1803612E
	v_pk_mul_f32 v[178:179], v[46:47], v[178:179]              // 000000007654: D3B140B2 1803652E
	v_pk_mul_f32 v[180:181], v[46:47], v[180:181]              // 00000000765C: D3B140B4 1803692E
	v_pk_mul_f32 v[182:183], v[46:47], v[182:183]              // 000000007664: D3B140B6 18036D2E
	v_pk_mul_f32 v[184:185], v[46:47], v[184:185]              // 00000000766C: D3B140B8 1803712E
	v_pk_mul_f32 v[186:187], v[46:47], v[186:187]              // 000000007674: D3B140BA 1803752E
	v_pk_mul_f32 v[188:189], v[46:47], v[188:189]              // 00000000767C: D3B140BC 1803792E
	v_pk_mul_f32 v[190:191], v[46:47], v[190:191]              // 000000007684: D3B140BE 18037D2E
	v_cvt_pk_bf16_f32 v176, v176, v177                         // 00000000768C: D26800B0 000363B0
	v_cvt_pk_bf16_f32 v177, v178, v179                         // 000000007694: D26800B1 000367B2
	v_cvt_pk_bf16_f32 v178, v180, v181                         // 00000000769C: D26800B2 00036BB4
	v_cvt_pk_bf16_f32 v179, v182, v183                         // 0000000076A4: D26800B3 00036FB6
	v_cvt_pk_bf16_f32 v180, v184, v185                         // 0000000076AC: D26800B4 000373B8
	v_cvt_pk_bf16_f32 v181, v186, v187                         // 0000000076B4: D26800B5 000377BA
	v_cvt_pk_bf16_f32 v182, v188, v189                         // 0000000076BC: D26800B6 00037BBC
	v_cvt_pk_bf16_f32 v183, v190, v191                         // 0000000076C4: D26800B7 00037FBE
	s_cmp_ge_u32 s80, 0x200                                    // 0000000076CC: BF09FF50 00000200
	s_cselect_b32 s59, 0x200, s59                              // 0000000076D4: 853B3BFF 00000200
	s_waitcnt lgkmcnt(0)                                       // 0000000076DC: BF8CC07F
	s_barrier                                                  // 0000000076E0: BF8A0000
	s_setvskip s20, 0                                          // 0000000076E4: BF108014
	global_atomic_pk_add_bf16 v80, v64, s[8:9]                 // 0000000076E8: DD488000 00084050
	s_setvskip 0, 0                                            // 0000000076F0: BF108080
	s_setvskip s20, 0                                          // 0000000076F4: BF108014
	global_atomic_pk_add_bf16 v80, v65, s[8:9] offset:256      // 0000000076F8: DD488100 00084150
	s_setvskip 0, 0                                            // 000000007700: BF108080
	s_setvskip s20, 1                                          // 000000007704: BF108114
	global_atomic_pk_add_bf16 v82, v66, s[8:9]                 // 000000007708: DD488000 00084252
	s_setvskip 0, 0                                            // 000000007710: BF108080
	s_setvskip s20, 1                                          // 000000007714: BF108114
	global_atomic_pk_add_bf16 v82, v67, s[8:9] offset:256      // 000000007718: DD488100 00084352
	s_setvskip 0, 0                                            // 000000007720: BF108080
	s_setvskip s20, 2                                          // 000000007724: BF108214
	global_atomic_pk_add_bf16 v84, v68, s[8:9]                 // 000000007728: DD488000 00084454
	s_setvskip 0, 0                                            // 000000007730: BF108080
	s_setvskip s20, 2                                          // 000000007734: BF108214
	global_atomic_pk_add_bf16 v84, v69, s[8:9] offset:256      // 000000007738: DD488100 00084554
	s_setvskip 0, 0                                            // 000000007740: BF108080
	s_setvskip s20, 3                                          // 000000007744: BF108314
	global_atomic_pk_add_bf16 v86, v70, s[8:9]                 // 000000007748: DD488000 00084656
	s_setvskip 0, 0                                            // 000000007750: BF108080
	s_setvskip s20, 3                                          // 000000007754: BF108314
	global_atomic_pk_add_bf16 v86, v71, s[8:9] offset:256      // 000000007758: DD488100 00084756
	s_setvskip 0, 0                                            // 000000007760: BF108080
	s_add_u32 s8, s59, s8                                      // 000000007764: 8008083B
	s_addc_u32 s9, 0, s9                                       // 000000007768: 82090980
	s_addk_i32 s80, 0x100                                      // 00000000776C: B7500100
	s_cmp_lt_i32 s80, s81                                      // 000000007770: BF045150
	s_cbranch_scc0 label_0B3D                                  // 000000007774: BF84F8DF
	s_waitcnt vmcnt(29) lgkmcnt(0)                             // 000000007778: BF8C407D
	s_barrier                                                  // 00000000777C: BF8A0000
	v_mfma_f32_16x16x128_f8f6f4 v[160:163], a[64:71], v[128:135], 0// 000000007780: D3AD00A0 0A030140
	buffer_load_dword v19, v6, s[16:19], 0 offen               // 000000007788: E0501000 80041306
	buffer_load_dwordx4 a[0:3], v37, s[12:15], 0 offen         // 000000007790: E05C1000 80830025
	buffer_load_dwordx4 a[4:7], v37, s[12:15], 0 offen offset:1024// 000000007798: E05C1400 80830425
	buffer_load_dwordx4 a[8:11], v38, s[12:15], 0 offen        // 0000000077A0: E05C1000 80830826
	buffer_load_dwordx4 a[12:15], v38, s[12:15], 0 offen offset:1024// 0000000077A8: E05C1400 80830C26
	v_mfma_f32_16x16x128_f8f6f4 v[164:167], a[72:79], v[128:135], 0// 0000000077B0: D3AD00A4 0A030148
	ds_read_b32 v64, v5 offset:11776                           // 0000000077B8: D86C2E00 40000005
	ds_read_b32 v65, v5 offset:16128                           // 0000000077C0: D86C3F00 41000005
	ds_read_b32 v66, v5 offset:11784                           // 0000000077C8: D86C2E08 42000005
	ds_read_b32 v67, v5 offset:16136                           // 0000000077D0: D86C3F08 43000005
	ds_read_b32 v68, v5 offset:11808                           // 0000000077D8: D86C2E20 44000005
	ds_read_b32 v69, v5 offset:16160                           // 0000000077E0: D86C3F20 45000005
	ds_read_b32 v70, v5 offset:11816                           // 0000000077E8: D86C2E28 46000005
	ds_read_b32 v71, v5 offset:16168                           // 0000000077F0: D86C3F28 47000005
	s_waitcnt vmcnt(29)                                        // 0000000077F8: BF8C4F7D
	v_mfma_f32_16x16x128_f8f6f4 v[168:171], a[80:87], v[128:135], 0// 0000000077FC: D3AD00A8 0A030150
	buffer_load_dwordx4 a[16:19], v39, s[12:15], 0 offen       // 000000007804: E05C1000 80831027
	buffer_load_dwordx4 a[20:23], v39, s[12:15], 0 offen offset:1024// 00000000780C: E05C1400 80831427
	buffer_load_dwordx4 a[24:27], v40, s[12:15], 0 offen       // 000000007814: E05C1000 80831828
	buffer_load_dwordx4 a[28:31], v40, s[12:15], 0 offen offset:1024// 00000000781C: E05C1400 80831C28
	s_add_u32 s12, s78, s12                                    // 000000007824: 800C0C4E
	s_addc_u32 s13, 0, s13                                     // 000000007828: 820D0D80
	v_mfma_f32_16x16x128_f8f6f4 v[172:175], a[88:95], v[128:135], 0// 00000000782C: D3AD00AC 0A030158
	v_mul_f32_dpp v46, v20, v28 row_newbcast:0 row_mask:0xf bank_mask:0xf// 000000007834: 0A5C38FA FF015014
	v_mov_b32_e32 v47, v46                                     // 00000000783C: 7E5E032E
	v_pk_mul_f32 v[160:161], v[46:47], v[160:161]              // 000000007840: D3B140A0 1803412E
	v_pk_mul_f32 v[162:163], v[46:47], v[162:163]              // 000000007848: D3B140A2 1803452E
	v_pk_mul_f32 v[164:165], v[46:47], v[164:165]              // 000000007850: D3B140A4 1803492E
	v_pk_mul_f32 v[166:167], v[46:47], v[166:167]              // 000000007858: D3B140A6 18034D2E
	v_mul_f32_dpp v46, v20, v28 row_newbcast:1 row_mask:0xf bank_mask:0xf// 000000007860: 0A5C38FA FF015114
	v_mov_b32_e32 v47, v46                                     // 000000007868: 7E5E032E
	v_pk_mul_f32 v[168:169], v[46:47], v[168:169]              // 00000000786C: D3B140A8 1803512E
	v_pk_mul_f32 v[170:171], v[46:47], v[170:171]              // 000000007874: D3B140AA 1803552E
	v_pk_mul_f32 v[172:173], v[46:47], v[172:173]              // 00000000787C: D3B140AC 1803592E
	v_pk_mul_f32 v[174:175], v[46:47], v[174:175]              // 000000007884: D3B140AE 18035D2E
	s_waitcnt vmcnt(29)                                        // 00000000788C: BF8C4F7D
	v_mfma_f32_16x16x128_f8f6f4 v[144:147], a[96:103], v[136:143], 0// 000000007890: D3AD0090 0A031160
	buffer_load_dwordx4 a[32:35], v37, s[12:15], 0 offen       // 000000007898: E05C1000 80832025
	buffer_load_dwordx4 a[36:39], v37, s[12:15], 0 offen offset:1024// 0000000078A0: E05C1400 80832425
	buffer_load_dwordx4 a[40:43], v38, s[12:15], 0 offen       // 0000000078A8: E05C1000 80832826
	buffer_load_dwordx4 a[44:47], v38, s[12:15], 0 offen offset:1024// 0000000078B0: E05C1400 80832C26
	v_mfma_f32_16x16x128_f8f6f4 v[148:151], a[104:111], v[136:143], 0// 0000000078B8: D3AD0094 0A031168
	ds_write_b64 v4, v[176:177] offset:29184                   // 0000000078C0: D89A7200 0000B004
	ds_write_b64 v4, v[178:179] offset:31360                   // 0000000078C8: D89A7A80 0000B204
	ds_write_b64 v4, v[180:181] offset:33536                   // 0000000078D0: D89A8300 0000B404
	ds_write_b64 v4, v[182:183] offset:35712                   // 0000000078D8: D89A8B80 0000B604
	s_waitcnt vmcnt(29)                                        // 0000000078E0: BF8C4F7D
	v_mfma_f32_16x16x128_f8f6f4 v[152:155], a[112:119], v[136:143], 0// 0000000078E4: D3AD0098 0A031170
	buffer_load_dwordx4 a[48:51], v39, s[12:15], 0 offen       // 0000000078EC: E05C1000 80833027
	buffer_load_dwordx4 a[52:55], v39, s[12:15], 0 offen offset:1024// 0000000078F4: E05C1400 80833427
	buffer_load_dwordx4 a[56:59], v40, s[12:15], 0 offen       // 0000000078FC: E05C1000 80833828
	buffer_load_dwordx4 a[60:63], v40, s[12:15], 0 offen offset:1024// 000000007904: E05C1400 80833C28
	v_mfma_f32_16x16x128_f8f6f4 v[156:159], a[120:127], v[136:143], 0// 00000000790C: D3AD009C 0A031178
	v_mul_f32_dpp v46, v20, v29 row_newbcast:2 row_mask:0xf bank_mask:0xf// 000000007914: 0A5C3AFA FF015214
	v_mov_b32_e32 v47, v46                                     // 00000000791C: 7E5E032E
	v_pk_fma_f32 v[160:161], v[144:145], v[46:47], v[160:161]  // 000000007920: D3B040A0 1E825D90
	v_pk_fma_f32 v[162:163], v[146:147], v[46:47], v[162:163]  // 000000007928: D3B040A2 1E8A5D92
	v_pk_fma_f32 v[164:165], v[148:149], v[46:47], v[164:165]  // 000000007930: D3B040A4 1E925D94
	v_pk_fma_f32 v[166:167], v[150:151], v[46:47], v[166:167]  // 000000007938: D3B040A6 1E9A5D96
	v_mul_f32_dpp v46, v20, v29 row_newbcast:3 row_mask:0xf bank_mask:0xf// 000000007940: 0A5C3AFA FF015314
	v_mov_b32_e32 v47, v46                                     // 000000007948: 7E5E032E
	v_pk_fma_f32 v[168:169], v[152:153], v[46:47], v[168:169]  // 00000000794C: D3B040A8 1EA25D98
	v_pk_fma_f32 v[170:171], v[154:155], v[46:47], v[170:171]  // 000000007954: D3B040AA 1EAA5D9A
	v_pk_fma_f32 v[172:173], v[156:157], v[46:47], v[172:173]  // 00000000795C: D3B040AC 1EB25D9C
	v_pk_fma_f32 v[174:175], v[158:159], v[46:47], v[174:175]  // 000000007964: D3B040AE 1EBA5D9E
	s_add_u32 s60, 0x300, s80                                  // 00000000796C: 803C50FF 00000300
	s_cmp_lt_u32 s60, s81                                      // 000000007974: BF0A513C
	s_cselect_b32 s56, s56, 0                                  // 000000007978: 85388038
	s_cselect_b32 s78, s78, 0                                  // 00000000797C: 854E804E
	s_cselect_b32 s79, s79, 0                                  // 000000007980: 854F804F
	s_add_u32 s12, s56, s12                                    // 000000007984: 800C0C38
	s_addc_u32 s13, 0, s13                                     // 000000007988: 820D0D80
	s_add_u32 s16, s79, s16                                    // 00000000798C: 8010104F
	s_addc_u32 s17, 0, s17                                     // 000000007990: 82111180
	v_mov_b32_e32 v46, v23                                     // 000000007994: 7E5C0317
	v_mov_b32_e32 v47, v23                                     // 000000007998: 7E5E0317
	v_pk_mul_f32 v[160:161], v[46:47], v[160:161]              // 00000000799C: D3B140A0 1803412E
	v_pk_mul_f32 v[162:163], v[46:47], v[162:163]              // 0000000079A4: D3B140A2 1803452E
	v_pk_mul_f32 v[164:165], v[46:47], v[164:165]              // 0000000079AC: D3B140A4 1803492E
	v_pk_mul_f32 v[166:167], v[46:47], v[166:167]              // 0000000079B4: D3B140A6 18034D2E
	v_pk_mul_f32 v[168:169], v[46:47], v[168:169]              // 0000000079BC: D3B140A8 1803512E
	v_pk_mul_f32 v[170:171], v[46:47], v[170:171]              // 0000000079C4: D3B140AA 1803552E
	v_pk_mul_f32 v[172:173], v[46:47], v[172:173]              // 0000000079CC: D3B140AC 1803592E
	v_pk_mul_f32 v[174:175], v[46:47], v[174:175]              // 0000000079D4: D3B140AE 18035D2E
	v_cvt_pk_bf16_f32 v160, v160, v161                         // 0000000079DC: D26800A0 000343A0
	v_cvt_pk_bf16_f32 v161, v162, v163                         // 0000000079E4: D26800A1 000347A2
	v_cvt_pk_bf16_f32 v162, v164, v165                         // 0000000079EC: D26800A2 00034BA4
	v_cvt_pk_bf16_f32 v163, v166, v167                         // 0000000079F4: D26800A3 00034FA6
	v_cvt_pk_bf16_f32 v164, v168, v169                         // 0000000079FC: D26800A4 000353A8
	v_cvt_pk_bf16_f32 v165, v170, v171                         // 000000007A04: D26800A5 000357AA
	v_cvt_pk_bf16_f32 v166, v172, v173                         // 000000007A0C: D26800A6 00035BAC
	v_cvt_pk_bf16_f32 v167, v174, v175                         // 000000007A14: D26800A7 00035FAE
	s_cmp_ge_u32 s80, 0x200                                    // 000000007A1C: BF09FF50 00000200
	s_cselect_b32 s59, 0x200, s59                              // 000000007A24: 853B3BFF 00000200
	s_waitcnt lgkmcnt(0)                                       // 000000007A2C: BF8CC07F
	s_barrier                                                  // 000000007A30: BF8A0000
	s_setvskip s20, 0                                          // 000000007A34: BF108014
	global_atomic_pk_add_bf16 v80, v64, s[8:9]                 // 000000007A38: DD488000 00084050
	s_setvskip 0, 0                                            // 000000007A40: BF108080
	s_setvskip s20, 0                                          // 000000007A44: BF108014
	global_atomic_pk_add_bf16 v80, v65, s[8:9] offset:256      // 000000007A48: DD488100 00084150
	s_setvskip 0, 0                                            // 000000007A50: BF108080
	s_setvskip s20, 1                                          // 000000007A54: BF108114
	global_atomic_pk_add_bf16 v82, v66, s[8:9]                 // 000000007A58: DD488000 00084252
	s_setvskip 0, 0                                            // 000000007A60: BF108080
	s_setvskip s20, 1                                          // 000000007A64: BF108114
	global_atomic_pk_add_bf16 v82, v67, s[8:9] offset:256      // 000000007A68: DD488100 00084352
	s_setvskip 0, 0                                            // 000000007A70: BF108080
	s_setvskip s20, 2                                          // 000000007A74: BF108214
	global_atomic_pk_add_bf16 v84, v68, s[8:9]                 // 000000007A78: DD488000 00084454
	s_setvskip 0, 0                                            // 000000007A80: BF108080
	s_setvskip s20, 2                                          // 000000007A84: BF108214
	global_atomic_pk_add_bf16 v84, v69, s[8:9] offset:256      // 000000007A88: DD488100 00084554
	s_setvskip 0, 0                                            // 000000007A90: BF108080
	s_setvskip s20, 3                                          // 000000007A94: BF108314
	global_atomic_pk_add_bf16 v86, v70, s[8:9]                 // 000000007A98: DD488000 00084656
	s_setvskip 0, 0                                            // 000000007AA0: BF108080
	s_setvskip s20, 3                                          // 000000007AA4: BF108314
	global_atomic_pk_add_bf16 v86, v71, s[8:9] offset:256      // 000000007AA8: DD488100 00084756
	s_setvskip 0, 0                                            // 000000007AB0: BF108080
	s_add_u32 s8, s59, s8                                      // 000000007AB4: 8008083B
	s_addc_u32 s9, 0, s9                                       // 000000007AB8: 82090980
	s_addk_i32 s80, 0x100                                      // 000000007ABC: B7500100
	s_cmp_lt_i32 s80, s81                                      // 000000007AC0: BF045150
	s_cbranch_scc0 label_0B3D                                  // 000000007AC4: BF84F80B
	s_waitcnt vmcnt(29) lgkmcnt(0)                             // 000000007AC8: BF8C407D
	s_barrier                                                  // 000000007ACC: BF8A0000
	v_mfma_f32_16x16x128_f8f6f4 v[176:179], a[128:135], v[128:135], 0// 000000007AD0: D3AD00B0 0A030180
	buffer_load_dword v20, v6, s[16:19], 0 offen               // 000000007AD8: E0501000 80041406
	buffer_load_dwordx4 a[64:67], v37, s[12:15], 0 offen       // 000000007AE0: E05C1000 80834025
	buffer_load_dwordx4 a[68:71], v37, s[12:15], 0 offen offset:1024// 000000007AE8: E05C1400 80834425
	buffer_load_dwordx4 a[72:75], v38, s[12:15], 0 offen       // 000000007AF0: E05C1000 80834826
	buffer_load_dwordx4 a[76:79], v38, s[12:15], 0 offen offset:1024// 000000007AF8: E05C1400 80834C26
	v_mfma_f32_16x16x128_f8f6f4 v[180:183], a[136:143], v[128:135], 0// 000000007B00: D3AD00B4 0A030188
	ds_read_b32 v64, v5 offset:29184                           // 000000007B08: D86C7200 40000005
	ds_read_b32 v65, v5 offset:33536                           // 000000007B10: D86C8300 41000005
	ds_read_b32 v66, v5 offset:29192                           // 000000007B18: D86C7208 42000005
	ds_read_b32 v67, v5 offset:33544                           // 000000007B20: D86C8308 43000005
	ds_read_b32 v68, v5 offset:29216                           // 000000007B28: D86C7220 44000005
	ds_read_b32 v69, v5 offset:33568                           // 000000007B30: D86C8320 45000005
	ds_read_b32 v70, v5 offset:29224                           // 000000007B38: D86C7228 46000005
	ds_read_b32 v71, v5 offset:33576                           // 000000007B40: D86C8328 47000005
	s_waitcnt vmcnt(29)                                        // 000000007B48: BF8C4F7D
	v_mfma_f32_16x16x128_f8f6f4 v[184:187], a[144:151], v[128:135], 0// 000000007B4C: D3AD00B8 0A030190
	buffer_load_dwordx4 a[80:83], v39, s[12:15], 0 offen       // 000000007B54: E05C1000 80835027
	buffer_load_dwordx4 a[84:87], v39, s[12:15], 0 offen offset:1024// 000000007B5C: E05C1400 80835427
	buffer_load_dwordx4 a[88:91], v40, s[12:15], 0 offen       // 000000007B64: E05C1000 80835828
	buffer_load_dwordx4 a[92:95], v40, s[12:15], 0 offen offset:1024// 000000007B6C: E05C1400 80835C28
	s_add_u32 s12, s78, s12                                    // 000000007B74: 800C0C4E
	s_addc_u32 s13, 0, s13                                     // 000000007B78: 820D0D80
	v_mfma_f32_16x16x128_f8f6f4 v[188:191], a[152:159], v[128:135], 0// 000000007B7C: D3AD00BC 0A030198
	v_mul_f32_dpp v46, v21, v28 row_newbcast:0 row_mask:0xf bank_mask:0xf// 000000007B84: 0A5C38FA FF015015
	v_mov_b32_e32 v47, v46                                     // 000000007B8C: 7E5E032E
	v_pk_mul_f32 v[176:177], v[46:47], v[176:177]              // 000000007B90: D3B140B0 1803612E
	v_pk_mul_f32 v[178:179], v[46:47], v[178:179]              // 000000007B98: D3B140B2 1803652E
	v_pk_mul_f32 v[180:181], v[46:47], v[180:181]              // 000000007BA0: D3B140B4 1803692E
	v_pk_mul_f32 v[182:183], v[46:47], v[182:183]              // 000000007BA8: D3B140B6 18036D2E
	v_mul_f32_dpp v46, v21, v28 row_newbcast:1 row_mask:0xf bank_mask:0xf// 000000007BB0: 0A5C38FA FF015115
	v_mov_b32_e32 v47, v46                                     // 000000007BB8: 7E5E032E
	v_pk_mul_f32 v[184:185], v[46:47], v[184:185]              // 000000007BBC: D3B140B8 1803712E
	v_pk_mul_f32 v[186:187], v[46:47], v[186:187]              // 000000007BC4: D3B140BA 1803752E
	v_pk_mul_f32 v[188:189], v[46:47], v[188:189]              // 000000007BCC: D3B140BC 1803792E
	v_pk_mul_f32 v[190:191], v[46:47], v[190:191]              // 000000007BD4: D3B140BE 18037D2E
	s_waitcnt vmcnt(29)                                        // 000000007BDC: BF8C4F7D
	v_mfma_f32_16x16x128_f8f6f4 v[144:147], a[160:167], v[136:143], 0// 000000007BE0: D3AD0090 0A0311A0
	buffer_load_dwordx4 a[96:99], v37, s[12:15], 0 offen       // 000000007BE8: E05C1000 80836025
	buffer_load_dwordx4 a[100:103], v37, s[12:15], 0 offen offset:1024// 000000007BF0: E05C1400 80836425
	buffer_load_dwordx4 a[104:107], v38, s[12:15], 0 offen     // 000000007BF8: E05C1000 80836826
	buffer_load_dwordx4 a[108:111], v38, s[12:15], 0 offen offset:1024// 000000007C00: E05C1400 80836C26
	v_mfma_f32_16x16x128_f8f6f4 v[148:151], a[168:175], v[136:143], 0// 000000007C08: D3AD0094 0A0311A8
	ds_write_b64 v4, v[160:161] offset:11776                   // 000000007C10: D89A2E00 0000A004
	ds_write_b64 v4, v[162:163] offset:13952                   // 000000007C18: D89A3680 0000A204
	ds_write_b64 v4, v[164:165] offset:16128                   // 000000007C20: D89A3F00 0000A404
	ds_write_b64 v4, v[166:167] offset:18304                   // 000000007C28: D89A4780 0000A604
	s_waitcnt vmcnt(29)                                        // 000000007C30: BF8C4F7D
	v_mfma_f32_16x16x128_f8f6f4 v[152:155], a[176:183], v[136:143], 0// 000000007C34: D3AD0098 0A0311B0
	buffer_load_dwordx4 a[112:115], v39, s[12:15], 0 offen     // 000000007C3C: E05C1000 80837027
	buffer_load_dwordx4 a[116:119], v39, s[12:15], 0 offen offset:1024// 000000007C44: E05C1400 80837427
	buffer_load_dwordx4 a[120:123], v40, s[12:15], 0 offen     // 000000007C4C: E05C1000 80837828
	buffer_load_dwordx4 a[124:127], v40, s[12:15], 0 offen offset:1024// 000000007C54: E05C1400 80837C28
	v_mfma_f32_16x16x128_f8f6f4 v[156:159], a[184:191], v[136:143], 0// 000000007C5C: D3AD009C 0A0311B8
	v_mul_f32_dpp v46, v21, v29 row_newbcast:2 row_mask:0xf bank_mask:0xf// 000000007C64: 0A5C3AFA FF015215
	v_mov_b32_e32 v47, v46                                     // 000000007C6C: 7E5E032E
	v_pk_fma_f32 v[176:177], v[144:145], v[46:47], v[176:177]  // 000000007C70: D3B040B0 1EC25D90
	v_pk_fma_f32 v[178:179], v[146:147], v[46:47], v[178:179]  // 000000007C78: D3B040B2 1ECA5D92
	v_pk_fma_f32 v[180:181], v[148:149], v[46:47], v[180:181]  // 000000007C80: D3B040B4 1ED25D94
	v_pk_fma_f32 v[182:183], v[150:151], v[46:47], v[182:183]  // 000000007C88: D3B040B6 1EDA5D96
	v_mul_f32_dpp v46, v21, v29 row_newbcast:3 row_mask:0xf bank_mask:0xf// 000000007C90: 0A5C3AFA FF015315
	v_mov_b32_e32 v47, v46                                     // 000000007C98: 7E5E032E
	v_pk_fma_f32 v[184:185], v[152:153], v[46:47], v[184:185]  // 000000007C9C: D3B040B8 1EE25D98
	v_pk_fma_f32 v[186:187], v[154:155], v[46:47], v[186:187]  // 000000007CA4: D3B040BA 1EEA5D9A
	v_pk_fma_f32 v[188:189], v[156:157], v[46:47], v[188:189]  // 000000007CAC: D3B040BC 1EF25D9C
	v_pk_fma_f32 v[190:191], v[158:159], v[46:47], v[190:191]  // 000000007CB4: D3B040BE 1EFA5D9E
	s_add_u32 s60, 0x300, s80                                  // 000000007CBC: 803C50FF 00000300
	s_cmp_lt_u32 s60, s81                                      // 000000007CC4: BF0A513C
	s_cselect_b32 s56, s56, 0                                  // 000000007CC8: 85388038
	s_cselect_b32 s78, s78, 0                                  // 000000007CCC: 854E804E
	s_cselect_b32 s79, s79, 0                                  // 000000007CD0: 854F804F
	s_add_u32 s12, s56, s12                                    // 000000007CD4: 800C0C38
	s_addc_u32 s13, 0, s13                                     // 000000007CD8: 820D0D80
	s_add_u32 s16, s79, s16                                    // 000000007CDC: 8010104F
	s_addc_u32 s17, 0, s17                                     // 000000007CE0: 82111180
	v_mov_b32_e32 v46, v23                                     // 000000007CE4: 7E5C0317
	v_mov_b32_e32 v47, v23                                     // 000000007CE8: 7E5E0317
	v_pk_mul_f32 v[176:177], v[46:47], v[176:177]              // 000000007CEC: D3B140B0 1803612E
	v_pk_mul_f32 v[178:179], v[46:47], v[178:179]              // 000000007CF4: D3B140B2 1803652E
	v_pk_mul_f32 v[180:181], v[46:47], v[180:181]              // 000000007CFC: D3B140B4 1803692E
	v_pk_mul_f32 v[182:183], v[46:47], v[182:183]              // 000000007D04: D3B140B6 18036D2E
	v_pk_mul_f32 v[184:185], v[46:47], v[184:185]              // 000000007D0C: D3B140B8 1803712E
	v_pk_mul_f32 v[186:187], v[46:47], v[186:187]              // 000000007D14: D3B140BA 1803752E
	v_pk_mul_f32 v[188:189], v[46:47], v[188:189]              // 000000007D1C: D3B140BC 1803792E
	v_pk_mul_f32 v[190:191], v[46:47], v[190:191]              // 000000007D24: D3B140BE 18037D2E
	v_cvt_pk_bf16_f32 v176, v176, v177                         // 000000007D2C: D26800B0 000363B0
	v_cvt_pk_bf16_f32 v177, v178, v179                         // 000000007D34: D26800B1 000367B2
	v_cvt_pk_bf16_f32 v178, v180, v181                         // 000000007D3C: D26800B2 00036BB4
	v_cvt_pk_bf16_f32 v179, v182, v183                         // 000000007D44: D26800B3 00036FB6
	v_cvt_pk_bf16_f32 v180, v184, v185                         // 000000007D4C: D26800B4 000373B8
	v_cvt_pk_bf16_f32 v181, v186, v187                         // 000000007D54: D26800B5 000377BA
	v_cvt_pk_bf16_f32 v182, v188, v189                         // 000000007D5C: D26800B6 00037BBC
	v_cvt_pk_bf16_f32 v183, v190, v191                         // 000000007D64: D26800B7 00037FBE
	s_cmp_ge_u32 s80, 0x200                                    // 000000007D6C: BF09FF50 00000200
	s_cselect_b32 s59, 0x200, s59                              // 000000007D74: 853B3BFF 00000200
	s_waitcnt lgkmcnt(0)                                       // 000000007D7C: BF8CC07F
	s_barrier                                                  // 000000007D80: BF8A0000
	s_setvskip s20, 0                                          // 000000007D84: BF108014
	global_atomic_pk_add_bf16 v80, v64, s[8:9]                 // 000000007D88: DD488000 00084050
	s_setvskip 0, 0                                            // 000000007D90: BF108080
	s_setvskip s20, 0                                          // 000000007D94: BF108014
	global_atomic_pk_add_bf16 v80, v65, s[8:9] offset:256      // 000000007D98: DD488100 00084150
	s_setvskip 0, 0                                            // 000000007DA0: BF108080
	s_setvskip s20, 1                                          // 000000007DA4: BF108114
	global_atomic_pk_add_bf16 v82, v66, s[8:9]                 // 000000007DA8: DD488000 00084252
	s_setvskip 0, 0                                            // 000000007DB0: BF108080
	s_setvskip s20, 1                                          // 000000007DB4: BF108114
	global_atomic_pk_add_bf16 v82, v67, s[8:9] offset:256      // 000000007DB8: DD488100 00084352
	s_setvskip 0, 0                                            // 000000007DC0: BF108080
	s_setvskip s20, 2                                          // 000000007DC4: BF108214
	global_atomic_pk_add_bf16 v84, v68, s[8:9]                 // 000000007DC8: DD488000 00084454
	s_setvskip 0, 0                                            // 000000007DD0: BF108080
	s_setvskip s20, 2                                          // 000000007DD4: BF108214
	global_atomic_pk_add_bf16 v84, v69, s[8:9] offset:256      // 000000007DD8: DD488100 00084554
	s_setvskip 0, 0                                            // 000000007DE0: BF108080
	s_setvskip s20, 3                                          // 000000007DE4: BF108314
	global_atomic_pk_add_bf16 v86, v70, s[8:9]                 // 000000007DE8: DD488000 00084656
	s_setvskip 0, 0                                            // 000000007DF0: BF108080
	s_setvskip s20, 3                                          // 000000007DF4: BF108314
	global_atomic_pk_add_bf16 v86, v71, s[8:9] offset:256      // 000000007DF8: DD488100 00084756
	s_setvskip 0, 0                                            // 000000007E00: BF108080
	s_add_u32 s8, s59, s8                                      // 000000007E04: 8008083B
	s_addc_u32 s9, 0, s9                                       // 000000007E08: 82090980
	s_addk_i32 s80, 0x100                                      // 000000007E0C: B7500100
	s_cmp_lt_i32 s80, s81                                      // 000000007E10: BF045150
	s_cbranch_scc0 label_0B3D                                  // 000000007E14: BF84F737
	s_branch label_0F0E                                        // 000000007E18: BF82FB07

0000000000007e1c <label_1407>:
	s_cmp_ge_u32 s59, 0                                        // 000000007E1C: BF09803B
	s_cselect_b32 s59, 0x200, s59                              // 000000007E20: 853B3BFF 00000200
	s_waitcnt lgkmcnt(0)                                       // 000000007E28: BF8CC07F
	s_barrier                                                  // 000000007E2C: BF8A0000
	s_cmp_eq_u32 s64, 0x100                                    // 000000007E30: BF06FF40 00000100
	s_cbranch_scc0 label_144B                                  // 000000007E38: BF84003C
	ds_write_b64 v4, v[160:161] offset:11776                   // 000000007E3C: D89A2E00 0000A004
	ds_write_b64 v4, v[162:163] offset:13952                   // 000000007E44: D89A3680 0000A204
	ds_write_b64 v4, v[164:165] offset:16128                   // 000000007E4C: D89A3F00 0000A404
	ds_write_b64 v4, v[166:167] offset:18304                   // 000000007E54: D89A4780 0000A604
	s_waitcnt lgkmcnt(0)                                       // 000000007E5C: BF8CC07F
	s_barrier                                                  // 000000007E60: BF8A0000
	ds_read_b32 v64, v5 offset:11776                           // 000000007E64: D86C2E00 40000005
	ds_read_b32 v65, v5 offset:16128                           // 000000007E6C: D86C3F00 41000005
	ds_read_b32 v66, v5 offset:11784                           // 000000007E74: D86C2E08 42000005
	ds_read_b32 v67, v5 offset:16136                           // 000000007E7C: D86C3F08 43000005
	ds_read_b32 v68, v5 offset:11808                           // 000000007E84: D86C2E20 44000005
	ds_read_b32 v69, v5 offset:16160                           // 000000007E8C: D86C3F20 45000005
	ds_read_b32 v70, v5 offset:11816                           // 000000007E94: D86C2E28 46000005
	ds_read_b32 v71, v5 offset:16168                           // 000000007E9C: D86C3F28 47000005
	s_waitcnt lgkmcnt(0)                                       // 000000007EA4: BF8CC07F
	s_setvskip s20, 0                                          // 000000007EA8: BF108014
	global_atomic_pk_add_bf16 v80, v64, s[8:9]                 // 000000007EAC: DD488000 00084050
	s_setvskip 0, 0                                            // 000000007EB4: BF108080
	s_setvskip s20, 0                                          // 000000007EB8: BF108014
	global_atomic_pk_add_bf16 v80, v65, s[8:9] offset:256      // 000000007EBC: DD488100 00084150
	s_setvskip 0, 0                                            // 000000007EC4: BF108080
	s_setvskip s20, 1                                          // 000000007EC8: BF108114
	global_atomic_pk_add_bf16 v82, v66, s[8:9]                 // 000000007ECC: DD488000 00084252
	s_setvskip 0, 0                                            // 000000007ED4: BF108080
	s_setvskip s20, 1                                          // 000000007ED8: BF108114
	global_atomic_pk_add_bf16 v82, v67, s[8:9] offset:256      // 000000007EDC: DD488100 00084352
	s_setvskip 0, 0                                            // 000000007EE4: BF108080
	s_setvskip s20, 2                                          // 000000007EE8: BF108214
	global_atomic_pk_add_bf16 v84, v68, s[8:9]                 // 000000007EEC: DD488000 00084454
	s_setvskip 0, 0                                            // 000000007EF4: BF108080
	s_setvskip s20, 2                                          // 000000007EF8: BF108214
	global_atomic_pk_add_bf16 v84, v69, s[8:9] offset:256      // 000000007EFC: DD488100 00084554
	s_setvskip 0, 0                                            // 000000007F04: BF108080
	s_setvskip s20, 3                                          // 000000007F08: BF108314
	global_atomic_pk_add_bf16 v86, v70, s[8:9]                 // 000000007F0C: DD488000 00084656
	s_setvskip 0, 0                                            // 000000007F14: BF108080
	s_setvskip s20, 3                                          // 000000007F18: BF108314
	global_atomic_pk_add_bf16 v86, v71, s[8:9] offset:256      // 000000007F1C: DD488100 00084756
	s_setvskip 0, 0                                            // 000000007F24: BF108080
	s_branch label_14B9                                        // 000000007F28: BF82006E

0000000000007f2c <label_144B>:
	ds_read_b32 v64, v5 offset:11776                           // 000000007F2C: D86C2E00 40000005
	ds_read_b32 v65, v5 offset:16128                           // 000000007F34: D86C3F00 41000005
	ds_read_b32 v66, v5 offset:11784                           // 000000007F3C: D86C2E08 42000005
	ds_read_b32 v67, v5 offset:16136                           // 000000007F44: D86C3F08 43000005
	ds_read_b32 v68, v5 offset:11808                           // 000000007F4C: D86C2E20 44000005
	ds_read_b32 v69, v5 offset:16160                           // 000000007F54: D86C3F20 45000005
	ds_read_b32 v70, v5 offset:11816                           // 000000007F5C: D86C2E28 46000005
	ds_read_b32 v71, v5 offset:16168                           // 000000007F64: D86C3F28 47000005
	s_waitcnt lgkmcnt(0)                                       // 000000007F6C: BF8CC07F
	s_setvskip s20, 0                                          // 000000007F70: BF108014
	global_atomic_pk_add_bf16 v80, v64, s[8:9]                 // 000000007F74: DD488000 00084050
	s_setvskip 0, 0                                            // 000000007F7C: BF108080
	s_setvskip s20, 0                                          // 000000007F80: BF108014
	global_atomic_pk_add_bf16 v80, v65, s[8:9] offset:256      // 000000007F84: DD488100 00084150
	s_setvskip 0, 0                                            // 000000007F8C: BF108080
	s_setvskip s20, 1                                          // 000000007F90: BF108114
	global_atomic_pk_add_bf16 v82, v66, s[8:9]                 // 000000007F94: DD488000 00084252
	s_setvskip 0, 0                                            // 000000007F9C: BF108080
	s_setvskip s20, 1                                          // 000000007FA0: BF108114
	global_atomic_pk_add_bf16 v82, v67, s[8:9] offset:256      // 000000007FA4: DD488100 00084352
	s_setvskip 0, 0                                            // 000000007FAC: BF108080
	s_setvskip s20, 2                                          // 000000007FB0: BF108214
	global_atomic_pk_add_bf16 v84, v68, s[8:9]                 // 000000007FB4: DD488000 00084454
	s_setvskip 0, 0                                            // 000000007FBC: BF108080
	s_setvskip s20, 2                                          // 000000007FC0: BF108214
	global_atomic_pk_add_bf16 v84, v69, s[8:9] offset:256      // 000000007FC4: DD488100 00084554
	s_setvskip 0, 0                                            // 000000007FCC: BF108080
	s_setvskip s20, 3                                          // 000000007FD0: BF108314
	global_atomic_pk_add_bf16 v86, v70, s[8:9]                 // 000000007FD4: DD488000 00084656
	s_setvskip 0, 0                                            // 000000007FDC: BF108080
	s_setvskip s20, 3                                          // 000000007FE0: BF108314
	global_atomic_pk_add_bf16 v86, v71, s[8:9] offset:256      // 000000007FE4: DD488100 00084756
	s_setvskip 0, 0                                            // 000000007FEC: BF108080
	s_add_u32 s8, s59, s8                                      // 000000007FF0: 8008083B
	s_addc_u32 s9, 0, s9                                       // 000000007FF4: 82090980
	ds_write_b64 v4, v[176:177] offset:29184                   // 000000007FF8: D89A7200 0000B004
	ds_write_b64 v4, v[178:179] offset:31360                   // 000000008000: D89A7A80 0000B204
	ds_write_b64 v4, v[180:181] offset:33536                   // 000000008008: D89A8300 0000B404
	ds_write_b64 v4, v[182:183] offset:35712                   // 000000008010: D89A8B80 0000B604
	s_waitcnt lgkmcnt(0)                                       // 000000008018: BF8CC07F
	s_barrier                                                  // 00000000801C: BF8A0000
	ds_read_b32 v64, v5 offset:29184                           // 000000008020: D86C7200 40000005
	ds_read_b32 v65, v5 offset:33536                           // 000000008028: D86C8300 41000005
	ds_read_b32 v66, v5 offset:29192                           // 000000008030: D86C7208 42000005
	ds_read_b32 v67, v5 offset:33544                           // 000000008038: D86C8308 43000005
	ds_read_b32 v68, v5 offset:29216                           // 000000008040: D86C7220 44000005
	ds_read_b32 v69, v5 offset:33568                           // 000000008048: D86C8320 45000005
	ds_read_b32 v70, v5 offset:29224                           // 000000008050: D86C7228 46000005
	ds_read_b32 v71, v5 offset:33576                           // 000000008058: D86C8328 47000005
	s_waitcnt lgkmcnt(0)                                       // 000000008060: BF8CC07F
	s_setvskip s20, 0                                          // 000000008064: BF108014
	global_atomic_pk_add_bf16 v80, v64, s[8:9]                 // 000000008068: DD488000 00084050
	s_setvskip 0, 0                                            // 000000008070: BF108080
	s_setvskip s20, 0                                          // 000000008074: BF108014
	global_atomic_pk_add_bf16 v80, v65, s[8:9] offset:256      // 000000008078: DD488100 00084150
	s_setvskip 0, 0                                            // 000000008080: BF108080
	s_setvskip s20, 1                                          // 000000008084: BF108114
	global_atomic_pk_add_bf16 v82, v66, s[8:9]                 // 000000008088: DD488000 00084252
	s_setvskip 0, 0                                            // 000000008090: BF108080
	s_setvskip s20, 1                                          // 000000008094: BF108114
	global_atomic_pk_add_bf16 v82, v67, s[8:9] offset:256      // 000000008098: DD488100 00084352
	s_setvskip 0, 0                                            // 0000000080A0: BF108080
	s_setvskip s20, 2                                          // 0000000080A4: BF108214
	global_atomic_pk_add_bf16 v84, v68, s[8:9]                 // 0000000080A8: DD488000 00084454
	s_setvskip 0, 0                                            // 0000000080B0: BF108080
	s_setvskip s20, 2                                          // 0000000080B4: BF108214
	global_atomic_pk_add_bf16 v84, v69, s[8:9] offset:256      // 0000000080B8: DD488100 00084554
	s_setvskip 0, 0                                            // 0000000080C0: BF108080
	s_setvskip s20, 3                                          // 0000000080C4: BF108314
	global_atomic_pk_add_bf16 v86, v70, s[8:9]                 // 0000000080C8: DD488000 00084656
	s_setvskip 0, 0                                            // 0000000080D0: BF108080
	s_setvskip s20, 3                                          // 0000000080D4: BF108314
	global_atomic_pk_add_bf16 v86, v71, s[8:9] offset:256      // 0000000080D8: DD488100 00084756
	s_setvskip 0, 0                                            // 0000000080E0: BF108080

00000000000080e4 <label_14B9>:
	s_waitcnt vmcnt(0) expcnt(0) lgkmcnt(0)                    // 0000000080E4: BF8C0000
	s_endpgm                                                   // 0000000080E8: BF810000
